;; amdgpu-corpus repo=ROCm/aiter kind=harvested arch=n/a opt=n/a

/root/src/amdgpu-assembly/repos/ROCm__aiter/hsa/gfx942/pa_a16w16_b16.co:	file format elf64-amdgpu

Disassembly of section .text:

0000000000001900 <pa_kernel_func>:
	s_and_b32 s1, s1, 0xffff                                   // 000000001900: 8601FF01 0000FFFF
	s_load_dwordx2 s[8:9], s[0:1], 0x0                         // 000000001908: C0060200 00000000
	s_load_dwordx2 s[12:13], s[0:1], 0x10                      // 000000001910: C0060300 00000010
	s_load_dwordx2 s[16:17], s[0:1], 0x20                      // 000000001918: C0060400 00000020
	s_load_dwordx2 s[20:21], s[0:1], 0x30                      // 000000001920: C0060500 00000030
	s_load_dwordx2 s[24:25], s[0:1], 0x40                      // 000000001928: C0060600 00000040
	s_load_dwordx2 s[28:29], s[0:1], 0x50                      // 000000001930: C0060700 00000050
	s_load_dword s64, s[0:1], 0x80                             // 000000001938: C0021000 00000080
	s_load_dword s65, s[0:1], 0x90                             // 000000001940: C0021040 00000090
	s_load_dword s66, s[0:1], 0xa0                             // 000000001948: C0021080 000000A0
	s_load_dword s67, s[0:1], 0xb0                             // 000000001950: C00210C0 000000B0
	s_load_dword s68, s[0:1], 0xc0                             // 000000001958: C0021100 000000C0
	s_load_dword s69, s[0:1], 0xd0                             // 000000001960: C0021140 000000D0
	v_lshrrev_b32_e32 v1, 10, v0                               // 000000001968: 2002008A
	v_lshrrev_b32_e32 v2, 10, v1                               // 00000000196C: 2004028A
	v_and_b32_e32 v2, 0x3ff, v2                                // 000000001970: 260404FF 000003FF
	v_and_b32_e32 v1, 0x3ff, v1                                // 000000001978: 260202FF 000003FF
	v_and_b32_e32 v0, 0x3ff, v0                                // 000000001980: 260000FF 000003FF
	v_lshrrev_b32_e32 v3, 6, v0                                // 000000001988: 20060086
	v_and_b32_e32 v0, 63, v0                                   // 00000000198C: 260000BF
	s_mov_b32 s2, s2                                           // 000000001990: BE820002
	s_mov_b32 s3, s3                                           // 000000001994: BE830003
	s_mov_b32 s4, s4                                           // 000000001998: BE840004
	v_readfirstlane_b32 s7, v3                                 // 00000000199C: 7E0E0503
	s_waitcnt lgkmcnt(0)                                       // 0000000019A0: BF8CC07F
	s_mul_i32 s60, s3, 4                                       // 0000000019A4: 923C8403
	s_and_b32 s29, s29, 0xffff                                 // 0000000019A8: 861DFF1D 0000FFFF
	s_add_u32 s28, s60, s28                                    // 0000000019B0: 801C1C3C
	s_addc_u32 s29, 0, s29                                     // 0000000019B4: 821D1D80
	s_load_dword s54, s[28:29], 0x0                            // 0000000019B8: C0020D8E 00000000
	s_mov_b32 s10, s67                                         // 0000000019C0: BE8A0043
	s_mov_b32 s14, s67                                         // 0000000019C4: BE8E0043
	s_mul_i32 s60, 4, s65                                      // 0000000019C8: 923C4184
	s_mov_b32 s26, s60                                         // 0000000019CC: BE9A003C
	s_mov_b32 s18, 0x80000000                                  // 0000000019D0: BE9200FF 80000000
	s_mov_b32 s22, 0x80000000                                  // 0000000019D8: BE9600FF 80000000
	s_mov_b32 s11, 0x20000                                     // 0000000019E0: BE8B00FF 00020000
	s_mov_b32 s15, 0x20000                                     // 0000000019E8: BE8F00FF 00020000
	s_mov_b32 s19, 0x20000                                     // 0000000019F0: BE9300FF 00020000
	s_mov_b32 s23, 0x20000                                     // 0000000019F8: BE9700FF 00020000
	s_mov_b32 s27, 0x20000                                     // 000000001A00: BE9B00FF 00020000
	s_and_b32 s9, s9, 0xffff                                   // 000000001A08: 8609FF09 0000FFFF
	s_and_b32 s13, s13, 0xffff                                 // 000000001A10: 860DFF0D 0000FFFF
	s_and_b32 s17, s17, 0xffff                                 // 000000001A18: 8611FF11 0000FFFF
	s_and_b32 s21, s21, 0xffff                                 // 000000001A20: 8615FF15 0000FFFF
	s_and_b32 s25, s25, 0xffff                                 // 000000001A28: 8619FF19 0000FFFF
	s_or_b32 s9, s9, 0x40000                                   // 000000001A30: 8709FF09 00040000
	s_or_b32 s13, s13, 0x40000                                 // 000000001A38: 870DFF0D 00040000
	s_or_b32 s17, s17, 0x40000                                 // 000000001A40: 8711FF11 00040000
	s_or_b32 s21, s21, 0x40000                                 // 000000001A48: 8715FF15 00040000
	s_or_b32 s25, s25, 0x40000                                 // 000000001A50: 8719FF19 00040000
	v_accvgpr_write_b32 a255, 0                                // 000000001A58: D3D940FF 18000080
	s_mov_b32 s70, 0x7060302                                   // 000000001A60: BEC600FF 07060302
	s_mul_i32 s60, s3, s65                                     // 000000001A68: 923C4103
	s_mul_i32 s60, s60, 4                                      // 000000001A6C: 923C843C
	s_add_u32 s24, s60, s24                                    // 000000001A70: 8018183C
	s_addc_u32 s25, 0, s25                                     // 000000001A74: 82191980
	s_mov_b32 s56, 64                                          // 000000001A78: BEB800C0
	s_waitcnt lgkmcnt(0)                                       // 000000001A7C: BF8CC07F
	s_add_u32 s55, s54, 15                                     // 000000001A80: 80378F36
	s_lshr_b32 s55, s55, 4                                     // 000000001A84: 8F378437
	s_mul_i32 s60, s55, 4                                      // 000000001A88: 923C8437
	s_mov_b32 s26, s60                                         // 000000001A8C: BE9A003C
	v_and_b32_e32 v39, 3, v0                                   // 000000001A90: 264E0083
	v_cmp_eq_u32_e64 s[60:61], 0, v39                          // 000000001A94: D0CA003C 00024E80
	v_and_b32_e32 v38, 12, v0                                  // 000000001A9C: 264C008C
	v_add_u32_e32 v1, s7, v38                                  // 000000001AA0: 68024C07
	v_cndmask_b32_e64 v1, 0, v1, s[60:61]                      // 000000001AA4: D1000001 00F20280
	v_and_b32_e32 v39, 3, v0                                   // 000000001AAC: 264E0083
	v_cmp_eq_u32_e64 s[60:61], 0, v39                          // 000000001AB0: D0CA003C 00024E80
	v_lshrrev_b32_e32 v38, 5, v0                               // 000000001AB8: 204C0085
	v_and_b32_e32 v39, 14, v0                                  // 000000001ABC: 264E008E
	v_add_u32_e32 v38, v39, v38                                // 000000001AC0: 684C4D27
	v_cndmask_b32_e64 v38, v38, 0, s[60:61]                    // 000000001AC4: D1000026 00F10126
	v_add_u32_e32 v1, v1, v38                                  // 000000001ACC: 68024D01
	v_lshlrev_b32_e32 v1, 2, v1                                // 000000001AD0: 24020282
	buffer_load_dword v16, v1, s[24:27], 0 offen               // 000000001AD4: E0501000 80061001
	v_add_u32_e32 v1, s56, v1                                  // 000000001ADC: 68020238
	buffer_load_dword v17, v1, s[24:27], 0 offen               // 000000001AE0: E0501000 80061101
	s_cmp_le_u32 s55, 32                                       // 000000001AE8: BF0BA037
	s_cselect_b32 s56, 0, s56                                  // 000000001AEC: 85383880
	s_mul_i32 s60, s3, s67                                     // 000000001AF0: 923C4303
	s_add_u32 s12, s60, s12                                    // 000000001AF4: 800C0C3C
	s_addc_u32 s13, 0, s13                                     // 000000001AF8: 820D0D80
	s_mul_i32 s60, s7, 0x420                                   // 000000001AFC: 923CFF07 00000420
	s_add_u32 m0, 0, s60                                       // 000000001B04: 807C3C80
	s_mul_i32 s60, s7, 0x100                                   // 000000001B08: 923CFF07 00000100
	v_lshlrev_b32_e32 v38, 2, v0                               // 000000001B10: 244C0082
	v_add_u32_e64 v38, v38, s60                                // 000000001B14: D1340026 00007926
	buffer_load_dword v38, s[12:15], 0 offen lds               // 000000001B1C: E0511000 80030026
	s_add_u32 m0, m0, 0x100                                    // 000000001B24: 807CFF7C 00000100
	v_add_u32_e32 v38, 0x400, v38                              // 000000001B2C: 684C4CFF 00000400
	buffer_load_dword v38, s[12:15], 0 offen lds               // 000000001B34: E0511000 80030026
	s_add_u32 m0, m0, 0x100                                    // 000000001B3C: 807CFF7C 00000100
	v_add_u32_e32 v38, 0x400, v38                              // 000000001B44: 684C4CFF 00000400
	s_mul_i32 s60, s7, 0x420                                   // 000000001B4C: 923CFF07 00000420
	v_lshlrev_b32_e32 v38, 2, v0                               // 000000001B54: 244C0082
	v_add_u32_e64 v38, v38, s60                                // 000000001B58: D1340026 00007926
	v_mov_b32_e32 v39, 0                                       // 000000001B60: 7E4E0280
	ds_write_b32 v38, v39 offset:512                           // 000000001B64: D81A0200 00002726
	ds_write_b32 v38, v39 offset:768                           // 000000001B6C: D81A0300 00002726
	s_mul_i32 s60, s3, s67                                     // 000000001B74: 923C4303
	s_add_u32 s8, s60, s8                                      // 000000001B78: 8008083C
	s_addc_u32 s9, 0, s9                                       // 000000001B7C: 82090980
	s_mul_i32 s60, s7, 0x100                                   // 000000001B80: 923CFF07 00000100
	v_lshlrev_b32_e32 v8, 2, v0                                // 000000001B88: 24100082
	v_add_u32_e64 v8, v8, s60                                  // 000000001B8C: D1340008 00007908
	s_mov_b32 s52, 0                                           // 000000001B94: BEB40080
	s_and_b32 s53, s54, 0xffffff00                             // 000000001B98: 8635FF36 FFFFFF00
	v_mov_b32_e32 v51, s68                                     // 000000001BA0: 7E660244
	v_mov_b32_e32 v9, -1                                       // 000000001BA4: 7E1202C1
	v_mov_b32_dpp v9, v9 row_shl:8 row_mask:0xf bank_mask:0xf bound_ctrl:1// 000000001BA8: 7E1202FA FF090809
	s_mov_b32 s6, 0x3fb8aa3b                                   // 000000001BB0: BE8600FF 3FB8AA3B
	v_mov_b32_e32 v14, 0xff800000                              // 000000001BB8: 7E1C02FF FF800000
	v_mov_b32_e32 v52, 0xff800000                              // 000000001BC0: 7E6802FF FF800000
	v_mov_b32_e32 v49, 0                                       // 000000001BC8: 7E620280
	v_mov_b32_e32 v42, 0                                       // 000000001BCC: 7E540280
	v_mov_b32_e32 v19, 0xffff0000                              // 000000001BD0: 7E2602FF FFFF0000
	v_mov_b32_e32 v20, 0x7fff0000                              // 000000001BD8: 7E2802FF 7FFF0000
	v_mov_b32_e32 v21, 0x7fff                                  // 000000001BE0: 7E2A02FF 00007FFF
	v_add_u32_e32 v1, s56, v1                                  // 000000001BE8: 68020238
	v_and_b32_e32 v10, 15, v0                                  // 000000001BEC: 2614008F
	v_lshlrev_b32_e32 v10, 2, v10                              // 000000001BF0: 24141482
	v_lshlrev_b32_e32 v11, 2, v0                               // 000000001BF4: 24160082
	s_mul_i32 s60, 0x100, s7                                   // 000000001BF8: 923C07FF 00000100
	v_add_u32_e32 v11, s60, v11                                // 000000001C00: 6816163C
	v_lshrrev_b32_e32 v38, 4, v0                               // 000000001C04: 204C0084
	v_lshlrev_b32_e32 v39, 6, v38                              // 000000001C08: 244E4C86
	v_and_b32_e32 v38, 15, v0                                  // 000000001C0C: 264C008F
	v_lshlrev_b32_e32 v38, 1, v38                              // 000000001C10: 244C4C81
	v_add_u32_e32 v39, v38, v39                                // 000000001C14: 684E4F26
	v_lshlrev_b32_e32 v12, 2, v39                              // 000000001C18: 24184E82
	v_lshlrev_b32_e32 v38, 3, v0                               // 000000001C1C: 244C0083
	s_mul_i32 s60, 0x200, s7                                   // 000000001C20: 923C07FF 00000200
	v_add_u32_e64 v13, v38, s60                                // 000000001C28: D134000D 00007926
	v_lshlrev_b32_e32 v6, 4, v0                                // 000000001C30: 240C0084
	v_and_b32_e32 v38, 15, v0                                  // 000000001C34: 264C008F
	v_lshlrev_b32_e32 v7, 4, v38                               // 000000001C38: 240E4C84
	v_and_b32_e32 v38, 31, v0                                  // 000000001C3C: 264C009F
	v_lshrrev_b32_e32 v38, 4, v38                              // 000000001C40: 204C4C84
	v_mul_i32_i24_e32 v38, 0x800, v38                          // 000000001C44: 0C4C4CFF 00000800
	v_add_u32_e32 v7, v38, v7                                  // 000000001C4C: 680E0F26
	s_mul_i32 s60, s7, 0x100                                   // 000000001C50: 923CFF07 00000100
	s_add_u32 s20, s60, s20                                    // 000000001C58: 8014143C
	s_addc_u32 s21, 0, s21                                     // 000000001C5C: 82151580
	s_waitcnt vmcnt(2)                                         // 000000001C60: BF8C0F72
	v_mul_u32_u24_dpp v38, v16, v51 row_newbcast:0 row_mask:0xf bank_mask:0xf// 000000001C64: 104C66FA FF015010
	v_mul_u32_u24_dpp v39, v16, v51 row_newbcast:4 row_mask:0xf bank_mask:0xf// 000000001C6C: 104E66FA FF015410
	v_mul_u32_u24_dpp v40, v16, v51 row_newbcast:8 row_mask:0xf bank_mask:0xf// 000000001C74: 105066FA FF015810
	v_mul_u32_u24_dpp v41, v16, v51 row_newbcast:12 row_mask:0xf bank_mask:0xf// 000000001C7C: 105266FA FF015C10
	v_add_u32_e32 v22, v38, v6                                 // 000000001C84: 682C0D26
	v_add_u32_e32 v23, v39, v6                                 // 000000001C88: 682E0D27
	v_add_u32_e32 v24, v40, v6                                 // 000000001C8C: 68300D28
	v_add_u32_e32 v25, v41, v6                                 // 000000001C90: 68320D29
	v_mul_u32_u24_dpp v38, v16, v51 row_newbcast:1 row_mask:0xf bank_mask:0xf// 000000001C94: 104C66FA FF015110
	v_mul_u32_u24_dpp v39, v16, v51 row_newbcast:2 row_mask:0xf bank_mask:0xf// 000000001C9C: 104E66FA FF015210
	v_mul_u32_u24_dpp v40, v16, v51 row_newbcast:5 row_mask:0xf bank_mask:0xf// 000000001CA4: 105066FA FF015510
	v_mul_u32_u24_dpp v41, v16, v51 row_newbcast:6 row_mask:0xf bank_mask:0xf// 000000001CAC: 105266FA FF015610
	v_add_u32_e32 v140, v38, v7                                // 000000001CB4: 69180F26
	v_add_u32_e32 v141, v39, v7                                // 000000001CB8: 691A0F27
	v_add_u32_e32 v142, v40, v7                                // 000000001CBC: 691C0F28
	v_add_u32_e32 v143, v41, v7                                // 000000001CC0: 691E0F29
	v_mul_u32_u24_dpp v38, v16, v51 row_newbcast:9 row_mask:0xf bank_mask:0xf// 000000001CC4: 104C66FA FF015910
	v_mul_u32_u24_dpp v39, v16, v51 row_newbcast:10 row_mask:0xf bank_mask:0xf// 000000001CCC: 104E66FA FF015A10
	v_mul_u32_u24_dpp v40, v16, v51 row_newbcast:13 row_mask:0xf bank_mask:0xf// 000000001CD4: 105066FA FF015D10
	v_mul_u32_u24_dpp v41, v16, v51 row_newbcast:14 row_mask:0xf bank_mask:0xf// 000000001CDC: 105266FA FF015E10
	v_add_u32_e32 v144, v38, v7                                // 000000001CE4: 69200F26
	v_add_u32_e32 v145, v39, v7                                // 000000001CE8: 69220F27
	v_add_u32_e32 v146, v40, v7                                // 000000001CEC: 69240F28
	v_add_u32_e32 v147, v41, v7                                // 000000001CF0: 69260F29
	buffer_load_dwordx4 a[0:3], v22, s[16:19], 0 offen         // 000000001CF4: E05C1000 80840016
	buffer_load_dwordx4 a[4:7], v22, s[16:19], 0 offen offset:1024// 000000001CFC: E05C1400 80840416
	buffer_load_dwordx4 a[8:11], v22, s[16:19], 0 offen offset:2048// 000000001D04: E05C1800 80840816
	buffer_load_dwordx4 a[12:15], v22, s[16:19], 0 offen offset:3072// 000000001D0C: E05C1C00 80840C16
	buffer_load_dwordx4 a[16:19], v23, s[16:19], 0 offen       // 000000001D14: E05C1000 80841017
	buffer_load_dwordx4 a[20:23], v23, s[16:19], 0 offen offset:1024// 000000001D1C: E05C1400 80841417
	buffer_load_dwordx4 a[24:27], v23, s[16:19], 0 offen offset:2048// 000000001D24: E05C1800 80841817
	buffer_load_dwordx4 a[28:31], v23, s[16:19], 0 offen offset:3072// 000000001D2C: E05C1C00 80841C17
	buffer_load_dwordx4 a[32:35], v24, s[16:19], 0 offen       // 000000001D34: E05C1000 80842018
	buffer_load_dwordx4 a[36:39], v24, s[16:19], 0 offen offset:1024// 000000001D3C: E05C1400 80842418
	buffer_load_dwordx4 a[40:43], v24, s[16:19], 0 offen offset:2048// 000000001D44: E05C1800 80842818
	buffer_load_dwordx4 a[44:47], v24, s[16:19], 0 offen offset:3072// 000000001D4C: E05C1C00 80842C18
	buffer_load_dwordx4 a[48:51], v25, s[16:19], 0 offen       // 000000001D54: E05C1000 80843019
	buffer_load_dwordx4 a[52:55], v25, s[16:19], 0 offen offset:1024// 000000001D5C: E05C1400 80843419
	buffer_load_dwordx4 a[56:59], v25, s[16:19], 0 offen offset:2048// 000000001D64: E05C1800 80843819
	buffer_load_dwordx4 a[60:63], v25, s[16:19], 0 offen offset:3072// 000000001D6C: E05C1C00 80843C19
	buffer_load_dwordx4 a[128:131], v140, s[20:23], 0 offen    // 000000001D74: E05C1000 8085808C
	buffer_load_dwordx4 a[132:135], v141, s[20:23], 0 offen    // 000000001D7C: E05C1000 8085848D
	buffer_load_dwordx4 a[136:139], v142, s[20:23], 0 offen    // 000000001D84: E05C1000 8085888E
	buffer_load_dwordx4 a[140:143], v143, s[20:23], 0 offen    // 000000001D8C: E05C1000 80858C8F
	buffer_load_dwordx4 a[144:147], v144, s[20:23], 0 offen    // 000000001D94: E05C1000 80859090
	buffer_load_dwordx4 a[148:151], v145, s[20:23], 0 offen    // 000000001D9C: E05C1000 80859491
	buffer_load_dwordx4 a[152:155], v146, s[20:23], 0 offen    // 000000001DA4: E05C1000 80859892
	buffer_load_dwordx4 a[156:159], v147, s[20:23], 0 offen    // 000000001DAC: E05C1000 80859C93
	buffer_load_dwordx4 a[160:163], v140, s[20:23], 0 offen offset:1024// 000000001DB4: E05C1400 8085A08C
	buffer_load_dwordx4 a[164:167], v141, s[20:23], 0 offen offset:1024// 000000001DBC: E05C1400 8085A48D
	buffer_load_dwordx4 a[168:171], v142, s[20:23], 0 offen offset:1024// 000000001DC4: E05C1400 8085A88E
	buffer_load_dwordx4 a[172:175], v143, s[20:23], 0 offen offset:1024// 000000001DCC: E05C1400 8085AC8F
	buffer_load_dwordx4 a[176:179], v144, s[20:23], 0 offen offset:1024// 000000001DD4: E05C1400 8085B090
	buffer_load_dwordx4 a[180:183], v145, s[20:23], 0 offen offset:1024// 000000001DDC: E05C1400 8085B491
	buffer_load_dwordx4 a[184:187], v146, s[20:23], 0 offen offset:1024// 000000001DE4: E05C1400 8085B892
	buffer_load_dwordx4 a[188:191], v147, s[20:23], 0 offen offset:1024// 000000001DEC: E05C1400 8085BC93
	v_lshrrev_b32_e32 v38, 4, v0                               // 000000001DF4: 204C0084
	v_lshlrev_b32_e32 v39, 2, v38                              // 000000001DF8: 244E4C82
	v_and_b32_e32 v38, 15, v0                                  // 000000001DFC: 264C008F
	v_lshrrev_b32_e32 v40, 2, v38                              // 000000001E00: 20504C82
	v_lshlrev_b32_e32 v40, 6, v40                              // 000000001E04: 24505086
	v_add_u32_e32 v39, v40, v39                                // 000000001E08: 684E4F28
	v_and_b32_e32 v38, 3, v0                                   // 000000001E0C: 264C0083
	v_mul_i32_i24_e32 v40, 0x108, v38                          // 000000001E10: 0C504CFF 00000108
	v_add_u32_e32 v39, v40, v39                                // 000000001E18: 684E4F28
	v_lshlrev_b32_e32 v4, 2, v39                               // 000000001E1C: 24084E82
	s_waitcnt vmcnt(32) lgkmcnt(0)                             // 000000001E20: BF8C8070
	s_barrier                                                  // 000000001E24: BF8A0000
	ds_read_b128 v[80:83], v4                                  // 000000001E28: D9FE0000 50000004
	ds_read_b128 v[84:87], v4 offset:64                        // 000000001E30: D9FE0040 54000004
	ds_read_b128 v[88:91], v4 offset:128                       // 000000001E38: D9FE0080 58000004
	ds_read_b128 v[92:95], v4 offset:192                       // 000000001E40: D9FE00C0 5C000004
	v_mov_b32_e32 v128, 0                                      // 000000001E48: 7F000280
	v_mov_b32_e32 v129, 0                                      // 000000001E4C: 7F020280
	v_mov_b32_e32 v130, 0                                      // 000000001E50: 7F040280
	v_mov_b32_e32 v131, 0                                      // 000000001E54: 7F060280
	v_mov_b32_e32 v132, 0                                      // 000000001E58: 7F080280
	v_mov_b32_e32 v133, 0                                      // 000000001E5C: 7F0A0280
	v_mov_b32_e32 v134, 0                                      // 000000001E60: 7F0C0280
	v_mov_b32_e32 v135, 0                                      // 000000001E64: 7F0E0280
	s_waitcnt vmcnt(16) lgkmcnt(0)                             // 000000001E68: BF8C4070
	s_barrier                                                  // 000000001E6C: BF8A0000
	v_mul_u32_u24_dpp v38, v17, v51 row_newbcast:0 row_mask:0xf bank_mask:0xf// 000000001E70: 104C66FA FF015011
	v_mul_u32_u24_dpp v39, v17, v51 row_newbcast:4 row_mask:0xf bank_mask:0xf// 000000001E78: 104E66FA FF015411
	v_mul_u32_u24_dpp v40, v17, v51 row_newbcast:8 row_mask:0xf bank_mask:0xf// 000000001E80: 105066FA FF015811
	v_mul_u32_u24_dpp v41, v17, v51 row_newbcast:12 row_mask:0xf bank_mask:0xf// 000000001E88: 105266FA FF015C11
	v_add_u32_e32 v26, v38, v6                                 // 000000001E90: 68340D26
	v_add_u32_e32 v27, v39, v6                                 // 000000001E94: 68360D27
	v_add_u32_e32 v28, v40, v6                                 // 000000001E98: 68380D28
	v_add_u32_e32 v29, v41, v6                                 // 000000001E9C: 683A0D29
	v_mul_u32_u24_dpp v38, v17, v51 row_newbcast:1 row_mask:0xf bank_mask:0xf// 000000001EA0: 104C66FA FF015111
	v_mul_u32_u24_dpp v39, v17, v51 row_newbcast:2 row_mask:0xf bank_mask:0xf// 000000001EA8: 104E66FA FF015211
	v_mul_u32_u24_dpp v40, v17, v51 row_newbcast:5 row_mask:0xf bank_mask:0xf// 000000001EB0: 105066FA FF015511
	v_mul_u32_u24_dpp v41, v17, v51 row_newbcast:6 row_mask:0xf bank_mask:0xf// 000000001EB8: 105266FA FF015611
	v_add_u32_e32 v148, v38, v7                                // 000000001EC0: 69280F26
	v_add_u32_e32 v149, v39, v7                                // 000000001EC4: 692A0F27
	v_add_u32_e32 v150, v40, v7                                // 000000001EC8: 692C0F28
	v_add_u32_e32 v151, v41, v7                                // 000000001ECC: 692E0F29
	v_mul_u32_u24_dpp v38, v17, v51 row_newbcast:9 row_mask:0xf bank_mask:0xf// 000000001ED0: 104C66FA FF015911
	v_mul_u32_u24_dpp v39, v17, v51 row_newbcast:10 row_mask:0xf bank_mask:0xf// 000000001ED8: 104E66FA FF015A11
	v_mul_u32_u24_dpp v40, v17, v51 row_newbcast:13 row_mask:0xf bank_mask:0xf// 000000001EE0: 105066FA FF015D11
	v_mul_u32_u24_dpp v41, v17, v51 row_newbcast:14 row_mask:0xf bank_mask:0xf// 000000001EE8: 105266FA FF015E11
	v_add_u32_e32 v152, v38, v7                                // 000000001EF0: 69300F26
	v_add_u32_e32 v153, v39, v7                                // 000000001EF4: 69320F27
	v_add_u32_e32 v154, v40, v7                                // 000000001EF8: 69340F28
	v_add_u32_e32 v155, v41, v7                                // 000000001EFC: 69360F29
	s_cmp_lt_u32 s55, 16                                       // 000000001F00: BF0A9037
	s_cbranch_scc1 label_0AFE                                  // 000000001F04: BF8508E4
	s_cmp_lt_i32 s7, 2                                         // 000000001F08: BF048207
	s_cbranch_scc0 label_057B                                  // 000000001F0C: BF8403B0

0000000000001f10 <label_018B>:
	s_waitcnt vmcnt(16) lgkmcnt(0)                             // 000000001F10: BF8C4070
	v_mfma_f32_16x16x16_bf16 v[96:99], a[0:1], v[80:81], 0     // 000000001F14: D3E10060 0A02A100
	v_mfma_f32_16x16x16_bf16 v[96:99], a[2:3], v[82:83], v[96:99]// 000000001F1C: D3E10060 0D82A502
	buffer_load_dwordx4 a[64:67], v26, s[16:19], 0 offen       // 000000001F24: E05C1000 8084401A
	v_mfma_f32_16x16x16_bf16 v[96:99], a[4:5], v[84:85], v[96:99]// 000000001F2C: D3E10060 0D82A904
	v_mfma_f32_16x16x16_bf16 v[96:99], a[6:7], v[86:87], v[96:99]// 000000001F34: D3E10060 0D82AD06
	buffer_load_dword v16, v1, s[24:27], 0 offen               // 000000001F3C: E0501000 80061001
	v_mfma_f32_16x16x16_bf16 v[96:99], a[8:9], v[88:89], v[96:99]// 000000001F44: D3E10060 0D82B108
	v_mfma_f32_16x16x16_bf16 v[96:99], a[10:11], v[90:91], v[96:99]// 000000001F4C: D3E10060 0D82B50A
	buffer_load_dwordx4 a[68:71], v26, s[16:19], 0 offen offset:1024// 000000001F54: E05C1400 8084441A
	v_mfma_f32_16x16x16_bf16 v[96:99], a[12:13], v[92:93], v[96:99]// 000000001F5C: D3E10060 0D82B90C
	v_mfma_f32_16x16x16_bf16 v[96:99], a[14:15], v[94:95], v[96:99]// 000000001F64: D3E10060 0D82BD0E
	v_mfma_f32_16x16x16_bf16 v[100:103], a[16:17], v[80:81], 0 // 000000001F6C: D3E10064 0A02A110
	v_mfma_f32_16x16x16_bf16 v[100:103], a[18:19], v[82:83], v[100:103]// 000000001F74: D3E10064 0D92A512
	buffer_load_dwordx4 a[72:75], v26, s[16:19], 0 offen offset:2048// 000000001F7C: E05C1800 8084481A
	v_mfma_f32_16x16x16_bf16 v[100:103], a[20:21], v[84:85], v[100:103]// 000000001F84: D3E10064 0D92A914
	v_mfma_f32_16x16x16_bf16 v[100:103], a[22:23], v[86:87], v[100:103]// 000000001F8C: D3E10064 0D92AD16
	v_mfma_f32_16x16x16_bf16 v[100:103], a[24:25], v[88:89], v[100:103]// 000000001F94: D3E10064 0D92B118
	v_mfma_f32_16x16x16_bf16 v[100:103], a[26:27], v[90:91], v[100:103]// 000000001F9C: D3E10064 0D92B51A
	buffer_load_dwordx4 a[76:79], v26, s[16:19], 0 offen offset:3072// 000000001FA4: E05C1C00 80844C1A
	v_mfma_f32_16x16x16_bf16 v[100:103], a[28:29], v[92:93], v[100:103]// 000000001FAC: D3E10064 0D92B91C
	v_mfma_f32_16x16x16_bf16 v[100:103], a[30:31], v[94:95], v[100:103]// 000000001FB4: D3E10064 0D92BD1E
	v_mfma_f32_16x16x16_bf16 v[104:107], a[32:33], v[80:81], 0 // 000000001FBC: D3E10068 0A02A120
	v_mfma_f32_16x16x16_bf16 v[104:107], a[34:35], v[82:83], v[104:107]// 000000001FC4: D3E10068 0DA2A522
	buffer_load_dwordx4 a[80:83], v27, s[16:19], 0 offen       // 000000001FCC: E05C1000 8084501B
	v_mfma_f32_16x16x16_bf16 v[104:107], a[36:37], v[84:85], v[104:107]// 000000001FD4: D3E10068 0DA2A924
	v_mfma_f32_16x16x16_bf16 v[104:107], a[38:39], v[86:87], v[104:107]// 000000001FDC: D3E10068 0DA2AD26
	v_mfma_f32_16x16x16_bf16 v[104:107], a[40:41], v[88:89], v[104:107]// 000000001FE4: D3E10068 0DA2B128
	v_mfma_f32_16x16x16_bf16 v[104:107], a[42:43], v[90:91], v[104:107]// 000000001FEC: D3E10068 0DA2B52A
	buffer_load_dwordx4 a[84:87], v27, s[16:19], 0 offen offset:1024// 000000001FF4: E05C1400 8084541B
	v_mfma_f32_16x16x16_bf16 v[104:107], a[44:45], v[92:93], v[104:107]// 000000001FFC: D3E10068 0DA2B92C
	v_mfma_f32_16x16x16_bf16 v[104:107], a[46:47], v[94:95], v[104:107]// 000000002004: D3E10068 0DA2BD2E
	v_mfma_f32_16x16x16_bf16 v[108:111], a[48:49], v[80:81], 0 // 00000000200C: D3E1006C 0A02A130
	v_mfma_f32_16x16x16_bf16 v[108:111], a[50:51], v[82:83], v[108:111]// 000000002014: D3E1006C 0DB2A532
	buffer_load_dwordx4 a[88:91], v27, s[16:19], 0 offen offset:2048// 00000000201C: E05C1800 8084581B
	v_mfma_f32_16x16x16_bf16 v[108:111], a[52:53], v[84:85], v[108:111]// 000000002024: D3E1006C 0DB2A934
	v_mfma_f32_16x16x16_bf16 v[108:111], a[54:55], v[86:87], v[108:111]// 00000000202C: D3E1006C 0DB2AD36
	v_mfma_f32_16x16x16_bf16 v[108:111], a[56:57], v[88:89], v[108:111]// 000000002034: D3E1006C 0DB2B138
	v_mfma_f32_16x16x16_bf16 v[108:111], a[58:59], v[90:91], v[108:111]// 00000000203C: D3E1006C 0DB2B53A
	buffer_load_dwordx4 a[92:95], v27, s[16:19], 0 offen offset:3072// 000000002044: E05C1C00 80845C1B
	v_mfma_f32_16x16x16_bf16 v[108:111], a[60:61], v[92:93], v[108:111]// 00000000204C: D3E1006C 0DB2B93C
	v_mfma_f32_16x16x16_bf16 v[108:111], a[62:63], v[94:95], v[108:111]// 000000002054: D3E1006C 0DB2BD3E
	buffer_load_dwordx4 a[96:99], v28, s[16:19], 0 offen       // 00000000205C: E05C1000 8084601C
	s_nop 8                                                    // 000000002064: BF800008
	v_or_b32_dpp v96, v104, v96 row_shr:8 row_mask:0xf bank_mask:0xf bound_ctrl:1// 000000002068: 28C0C0FA FF091868
	v_or_b32_dpp v97, v105, v97 row_shr:8 row_mask:0xf bank_mask:0xf bound_ctrl:1// 000000002070: 28C2C2FA FF091869
	v_or_b32_dpp v98, v106, v98 row_shr:8 row_mask:0xf bank_mask:0xf bound_ctrl:1// 000000002078: 28C4C4FA FF09186A
	v_or_b32_dpp v99, v107, v99 row_shr:8 row_mask:0xf bank_mask:0xf bound_ctrl:1// 000000002080: 28C6C6FA FF09186B
	v_or_b32_dpp v100, v108, v100 row_shr:8 row_mask:0xf bank_mask:0xf bound_ctrl:1// 000000002088: 28C8C8FA FF09186C
	v_or_b32_dpp v101, v109, v101 row_shr:8 row_mask:0xf bank_mask:0xf bound_ctrl:1// 000000002090: 28CACAFA FF09186D
	v_or_b32_dpp v102, v110, v102 row_shr:8 row_mask:0xf bank_mask:0xf bound_ctrl:1// 000000002098: 28CCCCFA FF09186E
	v_or_b32_dpp v103, v111, v103 row_shr:8 row_mask:0xf bank_mask:0xf bound_ctrl:1// 0000000020A0: 28CECEFA FF09186F
	buffer_load_dwordx4 a[100:103], v28, s[16:19], 0 offen offset:1024// 0000000020A8: E05C1400 8084641C
	v_mov_b32_e32 v48, v96                                     // 0000000020B0: 7E600360
	v_max3_f32 v48, v96, v97, v48                              // 0000000020B4: D1D30030 04C2C360
	v_max3_f32 v48, v98, v99, v48                              // 0000000020BC: D1D30030 04C2C762
	v_max3_f32 v48, v100, v101, v48                            // 0000000020C4: D1D30030 04C2CB64
	v_max3_f32 v48, v102, v103, v48                            // 0000000020CC: D1D30030 04C2CF66
	ds_write_b32 v11, v48 offset:4224                          // 0000000020D4: D81A1080 0000300B
	buffer_load_dwordx4 a[104:107], v28, s[16:19], 0 offen offset:2048// 0000000020DC: E05C1800 8084681C
	s_waitcnt lgkmcnt(0)                                       // 0000000020E4: BF8CC07F
	s_barrier                                                  // 0000000020E8: BF8A0000
	ds_read_b32 v64, v10 offset:4224                           // 0000000020EC: D86C1080 4000000A
	buffer_load_dwordx4 a[108:111], v28, s[16:19], 0 offen offset:3072// 0000000020F4: E05C1C00 80846C1C
	ds_read_b32 v65, v10 offset:4288                           // 0000000020FC: D86C10C0 4100000A
	ds_read_b32 v66, v10 offset:4352                           // 000000002104: D86C1100 4200000A
	ds_read_b32 v67, v10 offset:4416                           // 00000000210C: D86C1140 4300000A
	ds_read_b32 v68, v10 offset:4480                           // 000000002114: D86C1180 4400000A
	ds_read_b32 v69, v10 offset:4544                           // 00000000211C: D86C11C0 4500000A
	ds_read_b32 v70, v10 offset:4608                           // 000000002124: D86C1200 4600000A
	ds_read_b32 v71, v10 offset:4672                           // 00000000212C: D86C1240 4700000A
	ds_read_b32 v72, v10 offset:4736                           // 000000002134: D86C1280 4800000A
	buffer_load_dwordx4 a[112:115], v29, s[16:19], 0 offen     // 00000000213C: E05C1000 8084701D
	ds_read_b32 v73, v10 offset:4800                           // 000000002144: D86C12C0 4900000A
	ds_read_b32 v74, v10 offset:4864                           // 00000000214C: D86C1300 4A00000A
	ds_read_b32 v75, v10 offset:4928                           // 000000002154: D86C1340 4B00000A
	ds_read_b32 v76, v10 offset:4992                           // 00000000215C: D86C1380 4C00000A
	ds_read_b32 v77, v10 offset:5056                           // 000000002164: D86C13C0 4D00000A
	ds_read_b32 v78, v10 offset:5120                           // 00000000216C: D86C1400 4E00000A
	ds_read_b32 v79, v10 offset:5184                           // 000000002174: D86C1440 4F00000A
	buffer_load_dwordx4 a[116:119], v29, s[16:19], 0 offen offset:1024// 00000000217C: E05C1400 8084741D
	buffer_load_dwordx4 a[120:123], v29, s[16:19], 0 offen offset:2048// 000000002184: E05C1800 8084781D
	s_waitcnt lgkmcnt(0)                                       // 00000000218C: BF8CC07F
	v_max3_f32 v48, v64, v65, v48                              // 000000002190: D1D30030 04C28340
	v_max3_f32 v48, v66, v67, v48                              // 000000002198: D1D30030 04C28742
	v_max3_f32 v48, v68, v69, v48                              // 0000000021A0: D1D30030 04C28B44
	v_max3_f32 v48, v70, v71, v48                              // 0000000021A8: D1D30030 04C28F46
	v_max3_f32 v48, v72, v73, v48                              // 0000000021B0: D1D30030 04C29348
	v_max3_f32 v48, v74, v75, v48                              // 0000000021B8: D1D30030 04C2974A
	v_max3_f32 v48, v76, v77, v48                              // 0000000021C0: D1D30030 04C29B4C
	v_max3_f32 v48, v78, v79, v48                              // 0000000021C8: D1D30030 04C29F4E
	buffer_load_dwordx4 a[124:127], v29, s[16:19], 0 offen offset:3072// 0000000021D0: E05C1C00 80847C1D
	v_cmp_eq_u32_e64 s[40:41], v52, v14                        // 0000000021D8: D0CA0028 00021D34
	s_nop 1                                                    // 0000000021E0: BF800001
	v_mov_b32_dpp v38, v48 row_ror:8 row_mask:0xf bank_mask:0xf// 0000000021E4: 7E4C02FA FF012830
	v_max_f32_e32 v48, v48, v38                                // 0000000021EC: 16604D30
	v_max_f32_e32 v15, v48, v14                                // 0000000021F0: 161E1D30
	v_sub_f32_e32 v49, v14, v15                                // 0000000021F4: 04621F0E
	v_cndmask_b32_e64 v49, v49, 0, s[40:41]                    // 0000000021F8: D1000031 00A10131
	v_mov_b32_e32 v14, v15                                     // 000000002200: 7E1C030F
	v_mul_f32_e32 v50, s64, v15                                // 000000002204: 0A641E40
	v_mul_f32_e32 v49, s64, v49                                // 000000002208: 0A626240
	v_exp_f32_e32 v49, v49                                     // 00000000220C: 7E624131
	buffer_load_dwordx4 a[192:195], v148, s[20:23], 0 offen    // 000000002210: E05C1000 8085C094
	v_fma_f32 v96, v96, s64, -v50                              // 000000002218: D1CB0060 84C88160
	v_fma_f32 v97, v97, s64, -v50                              // 000000002220: D1CB0061 84C88161
	v_fma_f32 v98, v98, s64, -v50                              // 000000002228: D1CB0062 84C88162
	v_fma_f32 v99, v99, s64, -v50                              // 000000002230: D1CB0063 84C88163
	v_fma_f32 v100, v100, s64, -v50                            // 000000002238: D1CB0064 84C88164
	v_fma_f32 v101, v101, s64, -v50                            // 000000002240: D1CB0065 84C88165
	v_fma_f32 v102, v102, s64, -v50                            // 000000002248: D1CB0066 84C88166
	v_fma_f32 v103, v103, s64, -v50                            // 000000002250: D1CB0067 84C88167
	v_exp_f32_e32 v96, v96                                     // 000000002258: 7EC04160
	v_exp_f32_e32 v97, v97                                     // 00000000225C: 7EC24161
	v_exp_f32_e32 v98, v98                                     // 000000002260: 7EC44162
	v_exp_f32_e32 v99, v99                                     // 000000002264: 7EC64163
	v_exp_f32_e32 v100, v100                                   // 000000002268: 7EC84164
	v_exp_f32_e32 v101, v101                                   // 00000000226C: 7ECA4165
	v_exp_f32_e32 v102, v102                                   // 000000002270: 7ECC4166
	v_exp_f32_e32 v103, v103                                   // 000000002274: 7ECE4167
	buffer_load_dwordx4 a[196:199], v149, s[20:23], 0 offen    // 000000002278: E05C1000 8085C495
	v_mul_f32_e32 v42, v49, v42                                // 000000002280: 0A545531
	v_mov_b32_e32 v43, v96                                     // 000000002284: 7E560360
	v_add_f32_e32 v43, v97, v43                                // 000000002288: 02565761
	v_add_f32_e32 v43, v98, v43                                // 00000000228C: 02565762
	v_add_f32_e32 v43, v99, v43                                // 000000002290: 02565763
	v_add_f32_e32 v43, v100, v43                               // 000000002294: 02565764
	v_add_f32_e32 v43, v101, v43                               // 000000002298: 02565765
	v_add_f32_e32 v43, v102, v43                               // 00000000229C: 02565766
	v_add_f32_e32 v43, v103, v43                               // 0000000022A0: 02565767
	v_add_f32_e32 v42, v43, v42                                // 0000000022A4: 0254552B
	buffer_load_dwordx4 a[200:203], v150, s[20:23], 0 offen    // 0000000022A8: E05C1000 8085C896
	v_add_u32_e32 v96, 0x8000, v96                             // 0000000022B0: 68C0C0FF 00008000
	v_add_u32_e32 v97, 0x8000, v97                             // 0000000022B8: 68C2C2FF 00008000
	v_perm_b32 v96, v97, v96, s70                              // 0000000022C0: D1ED0060 011AC161
	v_add_u32_e32 v98, 0x8000, v98                             // 0000000022C8: 68C4C4FF 00008000
	v_add_u32_e32 v99, 0x8000, v99                             // 0000000022D0: 68C6C6FF 00008000
	v_perm_b32 v97, v99, v98, s70                              // 0000000022D8: D1ED0061 011AC563
	v_add_u32_e32 v100, 0x8000, v100                           // 0000000022E0: 68C8C8FF 00008000
	v_add_u32_e32 v101, 0x8000, v101                           // 0000000022E8: 68CACAFF 00008000
	v_perm_b32 v98, v101, v100, s70                            // 0000000022F0: D1ED0062 011AC965
	v_add_u32_e32 v102, 0x8000, v102                           // 0000000022F8: 68CCCCFF 00008000
	v_add_u32_e32 v103, 0x8000, v103                           // 000000002300: 68CECEFF 00008000
	v_perm_b32 v99, v103, v102, s70                            // 000000002308: D1ED0063 011ACD67
	buffer_load_dwordx4 a[204:207], v151, s[20:23], 0 offen    // 000000002310: E05C1000 8085CC97
	buffer_load_dwordx4 a[208:211], v152, s[20:23], 0 offen    // 000000002318: E05C1000 8085D098
	ds_write_b64 v13, v[96:97] offset:5248                     // 000000002320: D89A1480 0000600D
	ds_write_b64 v13, v[98:99] offset:7296                     // 000000002328: D89A1C80 0000620D
	buffer_load_dwordx4 a[212:215], v153, s[20:23], 0 offen    // 000000002330: E05C1000 8085D499
	s_waitcnt lgkmcnt(0)                                       // 000000002338: BF8CC07F
	s_barrier                                                  // 00000000233C: BF8A0000
	ds_read_b64 v[96:97], v12 offset:5248                      // 000000002340: D8EC1480 6000000C
	ds_read_b64 v[98:99], v12 offset:5376                      // 000000002348: D8EC1500 6200000C
	ds_read_b64 v[100:101], v12 offset:6272                    // 000000002350: D8EC1880 6400000C
	ds_read_b64 v[102:103], v12 offset:6400                    // 000000002358: D8EC1900 6600000C
	ds_read_b64 v[104:105], v12 offset:7296                    // 000000002360: D8EC1C80 6800000C
	ds_read_b64 v[106:107], v12 offset:7424                    // 000000002368: D8EC1D00 6A00000C
	ds_read_b64 v[108:109], v12 offset:8320                    // 000000002370: D8EC2080 6C00000C
	ds_read_b64 v[110:111], v12 offset:8448                    // 000000002378: D8EC2100 6E00000C
	buffer_load_dwordx4 a[216:219], v154, s[20:23], 0 offen    // 000000002380: E05C1000 8085D89A
	s_waitcnt lgkmcnt(0)                                       // 000000002388: BF8CC07F
	v_mov_b32_dpp v112, v96 row_shl:8 row_mask:0xf bank_mask:0xf bound_ctrl:1// 00000000238C: 7EE002FA FF090860
	v_and_b32_e32 v96, v96, v9                                 // 000000002394: 26C01360
	v_mov_b32_dpp v113, v97 row_shl:8 row_mask:0xf bank_mask:0xf bound_ctrl:1// 000000002398: 7EE202FA FF090861
	v_and_b32_e32 v97, v97, v9                                 // 0000000023A0: 26C21361
	v_mov_b32_dpp v114, v98 row_shl:8 row_mask:0xf bank_mask:0xf bound_ctrl:1// 0000000023A4: 7EE402FA FF090862
	v_and_b32_e32 v98, v98, v9                                 // 0000000023AC: 26C41362
	v_mov_b32_dpp v115, v99 row_shl:8 row_mask:0xf bank_mask:0xf bound_ctrl:1// 0000000023B0: 7EE602FA FF090863
	v_and_b32_e32 v99, v99, v9                                 // 0000000023B8: 26C61363
	v_mov_b32_dpp v116, v100 row_shl:8 row_mask:0xf bank_mask:0xf bound_ctrl:1// 0000000023BC: 7EE802FA FF090864
	v_and_b32_e32 v100, v100, v9                               // 0000000023C4: 26C81364
	v_mov_b32_dpp v117, v101 row_shl:8 row_mask:0xf bank_mask:0xf bound_ctrl:1// 0000000023C8: 7EEA02FA FF090865
	v_and_b32_e32 v101, v101, v9                               // 0000000023D0: 26CA1365
	v_mov_b32_dpp v118, v102 row_shl:8 row_mask:0xf bank_mask:0xf bound_ctrl:1// 0000000023D4: 7EEC02FA FF090866
	v_and_b32_e32 v102, v102, v9                               // 0000000023DC: 26CC1366
	v_mov_b32_dpp v119, v103 row_shl:8 row_mask:0xf bank_mask:0xf bound_ctrl:1// 0000000023E0: 7EEE02FA FF090867
	v_and_b32_e32 v103, v103, v9                               // 0000000023E8: 26CE1367
	v_mov_b32_dpp v120, v104 row_shl:8 row_mask:0xf bank_mask:0xf bound_ctrl:1// 0000000023EC: 7EF002FA FF090868
	v_and_b32_e32 v104, v104, v9                               // 0000000023F4: 26D01368
	v_mov_b32_dpp v121, v105 row_shl:8 row_mask:0xf bank_mask:0xf bound_ctrl:1// 0000000023F8: 7EF202FA FF090869
	v_and_b32_e32 v105, v105, v9                               // 000000002400: 26D21369
	v_mov_b32_dpp v122, v106 row_shl:8 row_mask:0xf bank_mask:0xf bound_ctrl:1// 000000002404: 7EF402FA FF09086A
	v_and_b32_e32 v106, v106, v9                               // 00000000240C: 26D4136A
	v_mov_b32_dpp v123, v107 row_shl:8 row_mask:0xf bank_mask:0xf bound_ctrl:1// 000000002410: 7EF602FA FF09086B
	v_and_b32_e32 v107, v107, v9                               // 000000002418: 26D6136B
	v_mov_b32_dpp v124, v108 row_shl:8 row_mask:0xf bank_mask:0xf bound_ctrl:1// 00000000241C: 7EF802FA FF09086C
	v_and_b32_e32 v108, v108, v9                               // 000000002424: 26D8136C
	v_mov_b32_dpp v125, v109 row_shl:8 row_mask:0xf bank_mask:0xf bound_ctrl:1// 000000002428: 7EFA02FA FF09086D
	v_and_b32_e32 v109, v109, v9                               // 000000002430: 26DA136D
	v_mov_b32_dpp v126, v110 row_shl:8 row_mask:0xf bank_mask:0xf bound_ctrl:1// 000000002434: 7EFC02FA FF09086E
	v_and_b32_e32 v110, v110, v9                               // 00000000243C: 26DC136E
	v_mov_b32_dpp v127, v111 row_shl:8 row_mask:0xf bank_mask:0xf bound_ctrl:1// 000000002440: 7EFE02FA FF09086F
	v_and_b32_e32 v111, v111, v9                               // 000000002448: 26DE136F
	buffer_load_dwordx4 a[220:223], v155, s[20:23], 0 offen    // 00000000244C: E05C1000 8085DC9B
	v_mul_f32_e32 v128, v49, v128                              // 000000002454: 0B010131
	v_mul_f32_e32 v129, v49, v129                              // 000000002458: 0B030331
	v_mul_f32_e32 v130, v49, v130                              // 00000000245C: 0B050531
	v_mul_f32_e32 v131, v49, v131                              // 000000002460: 0B070731
	v_mul_f32_e32 v132, v49, v132                              // 000000002464: 0B090931
	v_mul_f32_e32 v133, v49, v133                              // 000000002468: 0B0B0B31
	v_mul_f32_e32 v134, v49, v134                              // 00000000246C: 0B0D0D31
	v_mul_f32_e32 v135, v49, v135                              // 000000002470: 0B0F0F31
	s_waitcnt vmcnt(24)                                        // 000000002474: BF8C4F78
	v_mfma_f32_16x16x16_bf16 v[128:131], a[128:129], v[96:97], v[128:131]// 000000002478: D3E10080 0E02C180
	v_mfma_f32_16x16x16_bf16 v[128:131], a[130:131], v[98:99], v[128:131]// 000000002480: D3E10080 0E02C582
	buffer_load_dwordx4 a[224:227], v148, s[20:23], 0 offen offset:1024// 000000002488: E05C1400 8085E094
	v_mfma_f32_16x16x16_bf16 v[128:131], a[132:133], v[100:101], v[128:131]// 000000002490: D3E10080 0E02C984
	v_mfma_f32_16x16x16_bf16 v[128:131], a[134:135], v[102:103], v[128:131]// 000000002498: D3E10080 0E02CD86
	v_mfma_f32_16x16x16_bf16 v[128:131], a[136:137], v[104:105], v[128:131]// 0000000024A0: D3E10080 0E02D188
	v_mfma_f32_16x16x16_bf16 v[128:131], a[138:139], v[106:107], v[128:131]// 0000000024A8: D3E10080 0E02D58A
	buffer_load_dwordx4 a[228:231], v149, s[20:23], 0 offen offset:1024// 0000000024B0: E05C1400 8085E495
	v_mfma_f32_16x16x16_bf16 v[128:131], a[140:141], v[108:109], v[128:131]// 0000000024B8: D3E10080 0E02D98C
	v_mfma_f32_16x16x16_bf16 v[128:131], a[142:143], v[110:111], v[128:131]// 0000000024C0: D3E10080 0E02DD8E
	v_mfma_f32_16x16x16_bf16 v[128:131], a[144:145], v[112:113], v[128:131]// 0000000024C8: D3E10080 0E02E190
	v_mfma_f32_16x16x16_bf16 v[128:131], a[146:147], v[114:115], v[128:131]// 0000000024D0: D3E10080 0E02E592
	buffer_load_dwordx4 a[232:235], v150, s[20:23], 0 offen offset:1024// 0000000024D8: E05C1400 8085E896
	v_mfma_f32_16x16x16_bf16 v[128:131], a[148:149], v[116:117], v[128:131]// 0000000024E0: D3E10080 0E02E994
	v_mfma_f32_16x16x16_bf16 v[128:131], a[150:151], v[118:119], v[128:131]// 0000000024E8: D3E10080 0E02ED96
	v_mfma_f32_16x16x16_bf16 v[128:131], a[152:153], v[120:121], v[128:131]// 0000000024F0: D3E10080 0E02F198
	v_mfma_f32_16x16x16_bf16 v[128:131], a[154:155], v[122:123], v[128:131]// 0000000024F8: D3E10080 0E02F59A
	buffer_load_dwordx4 a[236:239], v151, s[20:23], 0 offen offset:1024// 000000002500: E05C1400 8085EC97
	v_mfma_f32_16x16x16_bf16 v[128:131], a[156:157], v[124:125], v[128:131]// 000000002508: D3E10080 0E02F99C
	v_mfma_f32_16x16x16_bf16 v[128:131], a[158:159], v[126:127], v[128:131]// 000000002510: D3E10080 0E02FD9E
	v_mfma_f32_16x16x16_bf16 v[132:135], a[160:161], v[96:97], v[132:135]// 000000002518: D3E10084 0E12C1A0
	v_mfma_f32_16x16x16_bf16 v[132:135], a[162:163], v[98:99], v[132:135]// 000000002520: D3E10084 0E12C5A2
	buffer_load_dwordx4 a[240:243], v152, s[20:23], 0 offen offset:1024// 000000002528: E05C1400 8085F098
	v_mfma_f32_16x16x16_bf16 v[132:135], a[164:165], v[100:101], v[132:135]// 000000002530: D3E10084 0E12C9A4
	v_mfma_f32_16x16x16_bf16 v[132:135], a[166:167], v[102:103], v[132:135]// 000000002538: D3E10084 0E12CDA6
	v_mfma_f32_16x16x16_bf16 v[132:135], a[168:169], v[104:105], v[132:135]// 000000002540: D3E10084 0E12D1A8
	v_mfma_f32_16x16x16_bf16 v[132:135], a[170:171], v[106:107], v[132:135]// 000000002548: D3E10084 0E12D5AA
	buffer_load_dwordx4 a[244:247], v153, s[20:23], 0 offen offset:1024// 000000002550: E05C1400 8085F499
	v_mfma_f32_16x16x16_bf16 v[132:135], a[172:173], v[108:109], v[132:135]// 000000002558: D3E10084 0E12D9AC
	v_mfma_f32_16x16x16_bf16 v[132:135], a[174:175], v[110:111], v[132:135]// 000000002560: D3E10084 0E12DDAE
	v_mfma_f32_16x16x16_bf16 v[132:135], a[176:177], v[112:113], v[132:135]// 000000002568: D3E10084 0E12E1B0
	v_mfma_f32_16x16x16_bf16 v[132:135], a[178:179], v[114:115], v[132:135]// 000000002570: D3E10084 0E12E5B2
	buffer_load_dwordx4 a[248:251], v154, s[20:23], 0 offen offset:1024// 000000002578: E05C1400 8085F89A
	v_mfma_f32_16x16x16_bf16 v[132:135], a[180:181], v[116:117], v[132:135]// 000000002580: D3E10084 0E12E9B4
	v_mfma_f32_16x16x16_bf16 v[132:135], a[182:183], v[118:119], v[132:135]// 000000002588: D3E10084 0E12EDB6
	v_mfma_f32_16x16x16_bf16 v[132:135], a[184:185], v[120:121], v[132:135]// 000000002590: D3E10084 0E12F1B8
	v_mfma_f32_16x16x16_bf16 v[132:135], a[186:187], v[122:123], v[132:135]// 000000002598: D3E10084 0E12F5BA
	buffer_load_dwordx4 a[252:255], v155, s[20:23], 0 offen offset:1024// 0000000025A0: E05C1400 8085FC9B
	v_mfma_f32_16x16x16_bf16 v[132:135], a[188:189], v[124:125], v[132:135]// 0000000025A8: D3E10084 0E12F9BC
	v_mfma_f32_16x16x16_bf16 v[132:135], a[190:191], v[126:127], v[132:135]// 0000000025B0: D3E10084 0E12FDBE
	s_lshr_b32 s60, s52, 4                                     // 0000000025B8: 8F3C8434
	s_add_u32 s60, 48, s60                                     // 0000000025BC: 803C3CB0
	s_cmp_ge_u32 s60, s55                                      // 0000000025C0: BF09373C
	s_cselect_b32 s56, 0, s56                                  // 0000000025C4: 85383880
	v_mul_u32_u24_dpp v38, v16, v51 row_newbcast:0 row_mask:0xf bank_mask:0xf// 0000000025C8: 104C66FA FF015010
	v_mul_u32_u24_dpp v39, v16, v51 row_newbcast:4 row_mask:0xf bank_mask:0xf// 0000000025D0: 104E66FA FF015410
	v_mul_u32_u24_dpp v40, v16, v51 row_newbcast:8 row_mask:0xf bank_mask:0xf// 0000000025D8: 105066FA FF015810
	v_mul_u32_u24_dpp v41, v16, v51 row_newbcast:12 row_mask:0xf bank_mask:0xf// 0000000025E0: 105266FA FF015C10
	v_add_u32_e32 v22, v38, v6                                 // 0000000025E8: 682C0D26
	v_add_u32_e32 v23, v39, v6                                 // 0000000025EC: 682E0D27
	v_add_u32_e32 v24, v40, v6                                 // 0000000025F0: 68300D28
	v_add_u32_e32 v25, v41, v6                                 // 0000000025F4: 68320D29
	v_mul_u32_u24_dpp v38, v16, v51 row_newbcast:1 row_mask:0xf bank_mask:0xf// 0000000025F8: 104C66FA FF015110
	v_mul_u32_u24_dpp v39, v16, v51 row_newbcast:2 row_mask:0xf bank_mask:0xf// 000000002600: 104E66FA FF015210
	v_mul_u32_u24_dpp v40, v16, v51 row_newbcast:5 row_mask:0xf bank_mask:0xf// 000000002608: 105066FA FF015510
	v_mul_u32_u24_dpp v41, v16, v51 row_newbcast:6 row_mask:0xf bank_mask:0xf// 000000002610: 105266FA FF015610
	v_add_u32_e32 v140, v38, v7                                // 000000002618: 69180F26
	v_add_u32_e32 v141, v39, v7                                // 00000000261C: 691A0F27
	v_add_u32_e32 v142, v40, v7                                // 000000002620: 691C0F28
	v_add_u32_e32 v143, v41, v7                                // 000000002624: 691E0F29
	v_mul_u32_u24_dpp v38, v16, v51 row_newbcast:9 row_mask:0xf bank_mask:0xf// 000000002628: 104C66FA FF015910
	v_mul_u32_u24_dpp v39, v16, v51 row_newbcast:10 row_mask:0xf bank_mask:0xf// 000000002630: 104E66FA FF015A10
	v_mul_u32_u24_dpp v40, v16, v51 row_newbcast:13 row_mask:0xf bank_mask:0xf// 000000002638: 105066FA FF015D10
	v_mul_u32_u24_dpp v41, v16, v51 row_newbcast:14 row_mask:0xf bank_mask:0xf// 000000002640: 105266FA FF015E10
	v_add_u32_e32 v144, v38, v7                                // 000000002648: 69200F26
	v_add_u32_e32 v145, v39, v7                                // 00000000264C: 69220F27
	v_add_u32_e32 v146, v40, v7                                // 000000002650: 69240F28
	v_add_u32_e32 v147, v41, v7                                // 000000002654: 69260F29
	v_add_u32_e32 v1, s56, v1                                  // 000000002658: 68020238
	s_addk_i32 s52, 0x100                                      // 00000000265C: B7340100
	s_cmp_lt_i32 s52, s53                                      // 000000002660: BF043534
	s_cbranch_scc0 label_0578                                  // 000000002664: BF8401D7
	s_waitcnt vmcnt(16) lgkmcnt(0)                             // 000000002668: BF8C4070
	v_mfma_f32_16x16x16_bf16 v[96:99], a[64:65], v[80:81], 0   // 00000000266C: D3E10060 0A02A140
	v_mfma_f32_16x16x16_bf16 v[96:99], a[66:67], v[82:83], v[96:99]// 000000002674: D3E10060 0D82A542
	buffer_load_dwordx4 a[0:3], v22, s[16:19], 0 offen         // 00000000267C: E05C1000 80840016
	v_mfma_f32_16x16x16_bf16 v[96:99], a[68:69], v[84:85], v[96:99]// 000000002684: D3E10060 0D82A944
	v_mfma_f32_16x16x16_bf16 v[96:99], a[70:71], v[86:87], v[96:99]// 00000000268C: D3E10060 0D82AD46
	buffer_load_dword v17, v1, s[24:27], 0 offen               // 000000002694: E0501000 80061101
	v_mfma_f32_16x16x16_bf16 v[96:99], a[72:73], v[88:89], v[96:99]// 00000000269C: D3E10060 0D82B148
	v_mfma_f32_16x16x16_bf16 v[96:99], a[74:75], v[90:91], v[96:99]// 0000000026A4: D3E10060 0D82B54A
	buffer_load_dwordx4 a[4:7], v22, s[16:19], 0 offen offset:1024// 0000000026AC: E05C1400 80840416
	v_mfma_f32_16x16x16_bf16 v[96:99], a[76:77], v[92:93], v[96:99]// 0000000026B4: D3E10060 0D82B94C
	v_mfma_f32_16x16x16_bf16 v[96:99], a[78:79], v[94:95], v[96:99]// 0000000026BC: D3E10060 0D82BD4E
	v_mfma_f32_16x16x16_bf16 v[100:103], a[80:81], v[80:81], 0 // 0000000026C4: D3E10064 0A02A150
	v_mfma_f32_16x16x16_bf16 v[100:103], a[82:83], v[82:83], v[100:103]// 0000000026CC: D3E10064 0D92A552
	buffer_load_dwordx4 a[8:11], v22, s[16:19], 0 offen offset:2048// 0000000026D4: E05C1800 80840816
	v_mfma_f32_16x16x16_bf16 v[100:103], a[84:85], v[84:85], v[100:103]// 0000000026DC: D3E10064 0D92A954
	v_mfma_f32_16x16x16_bf16 v[100:103], a[86:87], v[86:87], v[100:103]// 0000000026E4: D3E10064 0D92AD56
	v_mfma_f32_16x16x16_bf16 v[100:103], a[88:89], v[88:89], v[100:103]// 0000000026EC: D3E10064 0D92B158
	v_mfma_f32_16x16x16_bf16 v[100:103], a[90:91], v[90:91], v[100:103]// 0000000026F4: D3E10064 0D92B55A
	buffer_load_dwordx4 a[12:15], v22, s[16:19], 0 offen offset:3072// 0000000026FC: E05C1C00 80840C16
	v_mfma_f32_16x16x16_bf16 v[100:103], a[92:93], v[92:93], v[100:103]// 000000002704: D3E10064 0D92B95C
	v_mfma_f32_16x16x16_bf16 v[100:103], a[94:95], v[94:95], v[100:103]// 00000000270C: D3E10064 0D92BD5E
	v_mfma_f32_16x16x16_bf16 v[104:107], a[96:97], v[80:81], 0 // 000000002714: D3E10068 0A02A160
	v_mfma_f32_16x16x16_bf16 v[104:107], a[98:99], v[82:83], v[104:107]// 00000000271C: D3E10068 0DA2A562
	buffer_load_dwordx4 a[16:19], v23, s[16:19], 0 offen       // 000000002724: E05C1000 80841017
	v_mfma_f32_16x16x16_bf16 v[104:107], a[100:101], v[84:85], v[104:107]// 00000000272C: D3E10068 0DA2A964
	v_mfma_f32_16x16x16_bf16 v[104:107], a[102:103], v[86:87], v[104:107]// 000000002734: D3E10068 0DA2AD66
	v_mfma_f32_16x16x16_bf16 v[104:107], a[104:105], v[88:89], v[104:107]// 00000000273C: D3E10068 0DA2B168
	v_mfma_f32_16x16x16_bf16 v[104:107], a[106:107], v[90:91], v[104:107]// 000000002744: D3E10068 0DA2B56A
	buffer_load_dwordx4 a[20:23], v23, s[16:19], 0 offen offset:1024// 00000000274C: E05C1400 80841417
	v_mfma_f32_16x16x16_bf16 v[104:107], a[108:109], v[92:93], v[104:107]// 000000002754: D3E10068 0DA2B96C
	v_mfma_f32_16x16x16_bf16 v[104:107], a[110:111], v[94:95], v[104:107]// 00000000275C: D3E10068 0DA2BD6E
	v_mfma_f32_16x16x16_bf16 v[108:111], a[112:113], v[80:81], 0// 000000002764: D3E1006C 0A02A170
	v_mfma_f32_16x16x16_bf16 v[108:111], a[114:115], v[82:83], v[108:111]// 00000000276C: D3E1006C 0DB2A572
	buffer_load_dwordx4 a[24:27], v23, s[16:19], 0 offen offset:2048// 000000002774: E05C1800 80841817
	v_mfma_f32_16x16x16_bf16 v[108:111], a[116:117], v[84:85], v[108:111]// 00000000277C: D3E1006C 0DB2A974
	v_mfma_f32_16x16x16_bf16 v[108:111], a[118:119], v[86:87], v[108:111]// 000000002784: D3E1006C 0DB2AD76
	v_mfma_f32_16x16x16_bf16 v[108:111], a[120:121], v[88:89], v[108:111]// 00000000278C: D3E1006C 0DB2B178
	v_mfma_f32_16x16x16_bf16 v[108:111], a[122:123], v[90:91], v[108:111]// 000000002794: D3E1006C 0DB2B57A
	buffer_load_dwordx4 a[28:31], v23, s[16:19], 0 offen offset:3072// 00000000279C: E05C1C00 80841C17
	v_mfma_f32_16x16x16_bf16 v[108:111], a[124:125], v[92:93], v[108:111]// 0000000027A4: D3E1006C 0DB2B97C
	v_mfma_f32_16x16x16_bf16 v[108:111], a[126:127], v[94:95], v[108:111]// 0000000027AC: D3E1006C 0DB2BD7E
	buffer_load_dwordx4 a[32:35], v24, s[16:19], 0 offen       // 0000000027B4: E05C1000 80842018
	s_nop 8                                                    // 0000000027BC: BF800008
	v_or_b32_dpp v96, v104, v96 row_shr:8 row_mask:0xf bank_mask:0xf bound_ctrl:1// 0000000027C0: 28C0C0FA FF091868
	v_or_b32_dpp v97, v105, v97 row_shr:8 row_mask:0xf bank_mask:0xf bound_ctrl:1// 0000000027C8: 28C2C2FA FF091869
	v_or_b32_dpp v98, v106, v98 row_shr:8 row_mask:0xf bank_mask:0xf bound_ctrl:1// 0000000027D0: 28C4C4FA FF09186A
	v_or_b32_dpp v99, v107, v99 row_shr:8 row_mask:0xf bank_mask:0xf bound_ctrl:1// 0000000027D8: 28C6C6FA FF09186B
	v_or_b32_dpp v100, v108, v100 row_shr:8 row_mask:0xf bank_mask:0xf bound_ctrl:1// 0000000027E0: 28C8C8FA FF09186C
	v_or_b32_dpp v101, v109, v101 row_shr:8 row_mask:0xf bank_mask:0xf bound_ctrl:1// 0000000027E8: 28CACAFA FF09186D
	v_or_b32_dpp v102, v110, v102 row_shr:8 row_mask:0xf bank_mask:0xf bound_ctrl:1// 0000000027F0: 28CCCCFA FF09186E
	v_or_b32_dpp v103, v111, v103 row_shr:8 row_mask:0xf bank_mask:0xf bound_ctrl:1// 0000000027F8: 28CECEFA FF09186F
	buffer_load_dwordx4 a[36:39], v24, s[16:19], 0 offen offset:1024// 000000002800: E05C1400 80842418
	v_mov_b32_e32 v48, v96                                     // 000000002808: 7E600360
	v_max3_f32 v48, v96, v97, v48                              // 00000000280C: D1D30030 04C2C360
	v_max3_f32 v48, v98, v99, v48                              // 000000002814: D1D30030 04C2C762
	v_max3_f32 v48, v100, v101, v48                            // 00000000281C: D1D30030 04C2CB64
	v_max3_f32 v48, v102, v103, v48                            // 000000002824: D1D30030 04C2CF66
	ds_write_b32 v11, v48 offset:4224                          // 00000000282C: D81A1080 0000300B
	buffer_load_dwordx4 a[40:43], v24, s[16:19], 0 offen offset:2048// 000000002834: E05C1800 80842818
	s_waitcnt lgkmcnt(0)                                       // 00000000283C: BF8CC07F
	s_barrier                                                  // 000000002840: BF8A0000
	ds_read_b32 v64, v10 offset:4224                           // 000000002844: D86C1080 4000000A
	buffer_load_dwordx4 a[44:47], v24, s[16:19], 0 offen offset:3072// 00000000284C: E05C1C00 80842C18
	ds_read_b32 v65, v10 offset:4288                           // 000000002854: D86C10C0 4100000A
	ds_read_b32 v66, v10 offset:4352                           // 00000000285C: D86C1100 4200000A
	ds_read_b32 v67, v10 offset:4416                           // 000000002864: D86C1140 4300000A
	ds_read_b32 v68, v10 offset:4480                           // 00000000286C: D86C1180 4400000A
	ds_read_b32 v69, v10 offset:4544                           // 000000002874: D86C11C0 4500000A
	ds_read_b32 v70, v10 offset:4608                           // 00000000287C: D86C1200 4600000A
	ds_read_b32 v71, v10 offset:4672                           // 000000002884: D86C1240 4700000A
	ds_read_b32 v72, v10 offset:4736                           // 00000000288C: D86C1280 4800000A
	buffer_load_dwordx4 a[48:51], v25, s[16:19], 0 offen       // 000000002894: E05C1000 80843019
	ds_read_b32 v73, v10 offset:4800                           // 00000000289C: D86C12C0 4900000A
	ds_read_b32 v74, v10 offset:4864                           // 0000000028A4: D86C1300 4A00000A
	ds_read_b32 v75, v10 offset:4928                           // 0000000028AC: D86C1340 4B00000A
	ds_read_b32 v76, v10 offset:4992                           // 0000000028B4: D86C1380 4C00000A
	ds_read_b32 v77, v10 offset:5056                           // 0000000028BC: D86C13C0 4D00000A
	ds_read_b32 v78, v10 offset:5120                           // 0000000028C4: D86C1400 4E00000A
	ds_read_b32 v79, v10 offset:5184                           // 0000000028CC: D86C1440 4F00000A
	buffer_load_dwordx4 a[52:55], v25, s[16:19], 0 offen offset:1024// 0000000028D4: E05C1400 80843419
	buffer_load_dwordx4 a[56:59], v25, s[16:19], 0 offen offset:2048// 0000000028DC: E05C1800 80843819
	s_waitcnt lgkmcnt(0)                                       // 0000000028E4: BF8CC07F
	v_max3_f32 v48, v64, v65, v48                              // 0000000028E8: D1D30030 04C28340
	v_max3_f32 v48, v66, v67, v48                              // 0000000028F0: D1D30030 04C28742
	v_max3_f32 v48, v68, v69, v48                              // 0000000028F8: D1D30030 04C28B44
	v_max3_f32 v48, v70, v71, v48                              // 000000002900: D1D30030 04C28F46
	v_max3_f32 v48, v72, v73, v48                              // 000000002908: D1D30030 04C29348
	v_max3_f32 v48, v74, v75, v48                              // 000000002910: D1D30030 04C2974A
	v_max3_f32 v48, v76, v77, v48                              // 000000002918: D1D30030 04C29B4C
	v_max3_f32 v48, v78, v79, v48                              // 000000002920: D1D30030 04C29F4E
	buffer_load_dwordx4 a[60:63], v25, s[16:19], 0 offen offset:3072// 000000002928: E05C1C00 80843C19
	v_cmp_eq_u32_e64 s[40:41], v52, v14                        // 000000002930: D0CA0028 00021D34
	s_nop 1                                                    // 000000002938: BF800001
	v_mov_b32_dpp v38, v48 row_ror:8 row_mask:0xf bank_mask:0xf// 00000000293C: 7E4C02FA FF012830
	v_max_f32_e32 v48, v48, v38                                // 000000002944: 16604D30
	v_max_f32_e32 v15, v48, v14                                // 000000002948: 161E1D30
	v_sub_f32_e32 v49, v14, v15                                // 00000000294C: 04621F0E
	v_cndmask_b32_e64 v49, v49, 0, s[40:41]                    // 000000002950: D1000031 00A10131
	v_mov_b32_e32 v14, v15                                     // 000000002958: 7E1C030F
	v_mul_f32_e32 v50, s64, v15                                // 00000000295C: 0A641E40
	v_mul_f32_e32 v49, s64, v49                                // 000000002960: 0A626240
	v_exp_f32_e32 v49, v49                                     // 000000002964: 7E624131
	buffer_load_dwordx4 a[128:131], v140, s[20:23], 0 offen    // 000000002968: E05C1000 8085808C
	v_fma_f32 v96, v96, s64, -v50                              // 000000002970: D1CB0060 84C88160
	v_fma_f32 v97, v97, s64, -v50                              // 000000002978: D1CB0061 84C88161
	v_fma_f32 v98, v98, s64, -v50                              // 000000002980: D1CB0062 84C88162
	v_fma_f32 v99, v99, s64, -v50                              // 000000002988: D1CB0063 84C88163
	v_fma_f32 v100, v100, s64, -v50                            // 000000002990: D1CB0064 84C88164
	v_fma_f32 v101, v101, s64, -v50                            // 000000002998: D1CB0065 84C88165
	v_fma_f32 v102, v102, s64, -v50                            // 0000000029A0: D1CB0066 84C88166
	v_fma_f32 v103, v103, s64, -v50                            // 0000000029A8: D1CB0067 84C88167
	v_exp_f32_e32 v96, v96                                     // 0000000029B0: 7EC04160
	v_exp_f32_e32 v97, v97                                     // 0000000029B4: 7EC24161
	v_exp_f32_e32 v98, v98                                     // 0000000029B8: 7EC44162
	v_exp_f32_e32 v99, v99                                     // 0000000029BC: 7EC64163
	v_exp_f32_e32 v100, v100                                   // 0000000029C0: 7EC84164
	v_exp_f32_e32 v101, v101                                   // 0000000029C4: 7ECA4165
	v_exp_f32_e32 v102, v102                                   // 0000000029C8: 7ECC4166
	v_exp_f32_e32 v103, v103                                   // 0000000029CC: 7ECE4167
	buffer_load_dwordx4 a[132:135], v141, s[20:23], 0 offen    // 0000000029D0: E05C1000 8085848D
	v_mul_f32_e32 v42, v49, v42                                // 0000000029D8: 0A545531
	v_mov_b32_e32 v43, v96                                     // 0000000029DC: 7E560360
	v_add_f32_e32 v43, v97, v43                                // 0000000029E0: 02565761
	v_add_f32_e32 v43, v98, v43                                // 0000000029E4: 02565762
	v_add_f32_e32 v43, v99, v43                                // 0000000029E8: 02565763
	v_add_f32_e32 v43, v100, v43                               // 0000000029EC: 02565764
	v_add_f32_e32 v43, v101, v43                               // 0000000029F0: 02565765
	v_add_f32_e32 v43, v102, v43                               // 0000000029F4: 02565766
	v_add_f32_e32 v43, v103, v43                               // 0000000029F8: 02565767
	v_add_f32_e32 v42, v43, v42                                // 0000000029FC: 0254552B
	buffer_load_dwordx4 a[136:139], v142, s[20:23], 0 offen    // 000000002A00: E05C1000 8085888E
	v_add_u32_e32 v96, 0x8000, v96                             // 000000002A08: 68C0C0FF 00008000
	v_add_u32_e32 v97, 0x8000, v97                             // 000000002A10: 68C2C2FF 00008000
	v_perm_b32 v96, v97, v96, s70                              // 000000002A18: D1ED0060 011AC161
	v_add_u32_e32 v98, 0x8000, v98                             // 000000002A20: 68C4C4FF 00008000
	v_add_u32_e32 v99, 0x8000, v99                             // 000000002A28: 68C6C6FF 00008000
	v_perm_b32 v97, v99, v98, s70                              // 000000002A30: D1ED0061 011AC563
	v_add_u32_e32 v100, 0x8000, v100                           // 000000002A38: 68C8C8FF 00008000
	v_add_u32_e32 v101, 0x8000, v101                           // 000000002A40: 68CACAFF 00008000
	v_perm_b32 v98, v101, v100, s70                            // 000000002A48: D1ED0062 011AC965
	v_add_u32_e32 v102, 0x8000, v102                           // 000000002A50: 68CCCCFF 00008000
	v_add_u32_e32 v103, 0x8000, v103                           // 000000002A58: 68CECEFF 00008000
	v_perm_b32 v99, v103, v102, s70                            // 000000002A60: D1ED0063 011ACD67
	buffer_load_dwordx4 a[140:143], v143, s[20:23], 0 offen    // 000000002A68: E05C1000 80858C8F
	buffer_load_dwordx4 a[144:147], v144, s[20:23], 0 offen    // 000000002A70: E05C1000 80859090
	ds_write_b64 v13, v[96:97] offset:5248                     // 000000002A78: D89A1480 0000600D
	ds_write_b64 v13, v[98:99] offset:7296                     // 000000002A80: D89A1C80 0000620D
	buffer_load_dwordx4 a[148:151], v145, s[20:23], 0 offen    // 000000002A88: E05C1000 80859491
	s_waitcnt lgkmcnt(0)                                       // 000000002A90: BF8CC07F
	s_barrier                                                  // 000000002A94: BF8A0000
	ds_read_b64 v[96:97], v12 offset:5248                      // 000000002A98: D8EC1480 6000000C
	ds_read_b64 v[98:99], v12 offset:5376                      // 000000002AA0: D8EC1500 6200000C
	ds_read_b64 v[100:101], v12 offset:6272                    // 000000002AA8: D8EC1880 6400000C
	ds_read_b64 v[102:103], v12 offset:6400                    // 000000002AB0: D8EC1900 6600000C
	ds_read_b64 v[104:105], v12 offset:7296                    // 000000002AB8: D8EC1C80 6800000C
	ds_read_b64 v[106:107], v12 offset:7424                    // 000000002AC0: D8EC1D00 6A00000C
	ds_read_b64 v[108:109], v12 offset:8320                    // 000000002AC8: D8EC2080 6C00000C
	ds_read_b64 v[110:111], v12 offset:8448                    // 000000002AD0: D8EC2100 6E00000C
	buffer_load_dwordx4 a[152:155], v146, s[20:23], 0 offen    // 000000002AD8: E05C1000 80859892
	s_waitcnt lgkmcnt(0)                                       // 000000002AE0: BF8CC07F
	v_mov_b32_dpp v112, v96 row_shl:8 row_mask:0xf bank_mask:0xf bound_ctrl:1// 000000002AE4: 7EE002FA FF090860
	v_and_b32_e32 v96, v96, v9                                 // 000000002AEC: 26C01360
	v_mov_b32_dpp v113, v97 row_shl:8 row_mask:0xf bank_mask:0xf bound_ctrl:1// 000000002AF0: 7EE202FA FF090861
	v_and_b32_e32 v97, v97, v9                                 // 000000002AF8: 26C21361
	v_mov_b32_dpp v114, v98 row_shl:8 row_mask:0xf bank_mask:0xf bound_ctrl:1// 000000002AFC: 7EE402FA FF090862
	v_and_b32_e32 v98, v98, v9                                 // 000000002B04: 26C41362
	v_mov_b32_dpp v115, v99 row_shl:8 row_mask:0xf bank_mask:0xf bound_ctrl:1// 000000002B08: 7EE602FA FF090863
	v_and_b32_e32 v99, v99, v9                                 // 000000002B10: 26C61363
	v_mov_b32_dpp v116, v100 row_shl:8 row_mask:0xf bank_mask:0xf bound_ctrl:1// 000000002B14: 7EE802FA FF090864
	v_and_b32_e32 v100, v100, v9                               // 000000002B1C: 26C81364
	v_mov_b32_dpp v117, v101 row_shl:8 row_mask:0xf bank_mask:0xf bound_ctrl:1// 000000002B20: 7EEA02FA FF090865
	v_and_b32_e32 v101, v101, v9                               // 000000002B28: 26CA1365
	v_mov_b32_dpp v118, v102 row_shl:8 row_mask:0xf bank_mask:0xf bound_ctrl:1// 000000002B2C: 7EEC02FA FF090866
	v_and_b32_e32 v102, v102, v9                               // 000000002B34: 26CC1366
	v_mov_b32_dpp v119, v103 row_shl:8 row_mask:0xf bank_mask:0xf bound_ctrl:1// 000000002B38: 7EEE02FA FF090867
	v_and_b32_e32 v103, v103, v9                               // 000000002B40: 26CE1367
	v_mov_b32_dpp v120, v104 row_shl:8 row_mask:0xf bank_mask:0xf bound_ctrl:1// 000000002B44: 7EF002FA FF090868
	v_and_b32_e32 v104, v104, v9                               // 000000002B4C: 26D01368
	v_mov_b32_dpp v121, v105 row_shl:8 row_mask:0xf bank_mask:0xf bound_ctrl:1// 000000002B50: 7EF202FA FF090869
	v_and_b32_e32 v105, v105, v9                               // 000000002B58: 26D21369
	v_mov_b32_dpp v122, v106 row_shl:8 row_mask:0xf bank_mask:0xf bound_ctrl:1// 000000002B5C: 7EF402FA FF09086A
	v_and_b32_e32 v106, v106, v9                               // 000000002B64: 26D4136A
	v_mov_b32_dpp v123, v107 row_shl:8 row_mask:0xf bank_mask:0xf bound_ctrl:1// 000000002B68: 7EF602FA FF09086B
	v_and_b32_e32 v107, v107, v9                               // 000000002B70: 26D6136B
	v_mov_b32_dpp v124, v108 row_shl:8 row_mask:0xf bank_mask:0xf bound_ctrl:1// 000000002B74: 7EF802FA FF09086C
	v_and_b32_e32 v108, v108, v9                               // 000000002B7C: 26D8136C
	v_mov_b32_dpp v125, v109 row_shl:8 row_mask:0xf bank_mask:0xf bound_ctrl:1// 000000002B80: 7EFA02FA FF09086D
	v_and_b32_e32 v109, v109, v9                               // 000000002B88: 26DA136D
	v_mov_b32_dpp v126, v110 row_shl:8 row_mask:0xf bank_mask:0xf bound_ctrl:1// 000000002B8C: 7EFC02FA FF09086E
	v_and_b32_e32 v110, v110, v9                               // 000000002B94: 26DC136E
	v_mov_b32_dpp v127, v111 row_shl:8 row_mask:0xf bank_mask:0xf bound_ctrl:1// 000000002B98: 7EFE02FA FF09086F
	v_and_b32_e32 v111, v111, v9                               // 000000002BA0: 26DE136F
	buffer_load_dwordx4 a[156:159], v147, s[20:23], 0 offen    // 000000002BA4: E05C1000 80859C93
	v_mul_f32_e32 v128, v49, v128                              // 000000002BAC: 0B010131
	v_mul_f32_e32 v129, v49, v129                              // 000000002BB0: 0B030331
	v_mul_f32_e32 v130, v49, v130                              // 000000002BB4: 0B050531
	v_mul_f32_e32 v131, v49, v131                              // 000000002BB8: 0B070731
	v_mul_f32_e32 v132, v49, v132                              // 000000002BBC: 0B090931
	v_mul_f32_e32 v133, v49, v133                              // 000000002BC0: 0B0B0B31
	v_mul_f32_e32 v134, v49, v134                              // 000000002BC4: 0B0D0D31
	v_mul_f32_e32 v135, v49, v135                              // 000000002BC8: 0B0F0F31
	s_waitcnt vmcnt(24)                                        // 000000002BCC: BF8C4F78
	v_mfma_f32_16x16x16_bf16 v[128:131], a[192:193], v[96:97], v[128:131]// 000000002BD0: D3E10080 0E02C1C0
	v_mfma_f32_16x16x16_bf16 v[128:131], a[194:195], v[98:99], v[128:131]// 000000002BD8: D3E10080 0E02C5C2
	buffer_load_dwordx4 a[160:163], v140, s[20:23], 0 offen offset:1024// 000000002BE0: E05C1400 8085A08C
	v_mfma_f32_16x16x16_bf16 v[128:131], a[196:197], v[100:101], v[128:131]// 000000002BE8: D3E10080 0E02C9C4
	v_mfma_f32_16x16x16_bf16 v[128:131], a[198:199], v[102:103], v[128:131]// 000000002BF0: D3E10080 0E02CDC6
	v_mfma_f32_16x16x16_bf16 v[128:131], a[200:201], v[104:105], v[128:131]// 000000002BF8: D3E10080 0E02D1C8
	v_mfma_f32_16x16x16_bf16 v[128:131], a[202:203], v[106:107], v[128:131]// 000000002C00: D3E10080 0E02D5CA
	buffer_load_dwordx4 a[164:167], v141, s[20:23], 0 offen offset:1024// 000000002C08: E05C1400 8085A48D
	v_mfma_f32_16x16x16_bf16 v[128:131], a[204:205], v[108:109], v[128:131]// 000000002C10: D3E10080 0E02D9CC
	v_mfma_f32_16x16x16_bf16 v[128:131], a[206:207], v[110:111], v[128:131]// 000000002C18: D3E10080 0E02DDCE
	v_mfma_f32_16x16x16_bf16 v[128:131], a[208:209], v[112:113], v[128:131]// 000000002C20: D3E10080 0E02E1D0
	v_mfma_f32_16x16x16_bf16 v[128:131], a[210:211], v[114:115], v[128:131]// 000000002C28: D3E10080 0E02E5D2
	buffer_load_dwordx4 a[168:171], v142, s[20:23], 0 offen offset:1024// 000000002C30: E05C1400 8085A88E
	v_mfma_f32_16x16x16_bf16 v[128:131], a[212:213], v[116:117], v[128:131]// 000000002C38: D3E10080 0E02E9D4
	v_mfma_f32_16x16x16_bf16 v[128:131], a[214:215], v[118:119], v[128:131]// 000000002C40: D3E10080 0E02EDD6
	v_mfma_f32_16x16x16_bf16 v[128:131], a[216:217], v[120:121], v[128:131]// 000000002C48: D3E10080 0E02F1D8
	v_mfma_f32_16x16x16_bf16 v[128:131], a[218:219], v[122:123], v[128:131]// 000000002C50: D3E10080 0E02F5DA
	buffer_load_dwordx4 a[172:175], v143, s[20:23], 0 offen offset:1024// 000000002C58: E05C1400 8085AC8F
	v_mfma_f32_16x16x16_bf16 v[128:131], a[220:221], v[124:125], v[128:131]// 000000002C60: D3E10080 0E02F9DC
	v_mfma_f32_16x16x16_bf16 v[128:131], a[222:223], v[126:127], v[128:131]// 000000002C68: D3E10080 0E02FDDE
	v_mfma_f32_16x16x16_bf16 v[132:135], a[224:225], v[96:97], v[132:135]// 000000002C70: D3E10084 0E12C1E0
	v_mfma_f32_16x16x16_bf16 v[132:135], a[226:227], v[98:99], v[132:135]// 000000002C78: D3E10084 0E12C5E2
	buffer_load_dwordx4 a[176:179], v144, s[20:23], 0 offen offset:1024// 000000002C80: E05C1400 8085B090
	v_mfma_f32_16x16x16_bf16 v[132:135], a[228:229], v[100:101], v[132:135]// 000000002C88: D3E10084 0E12C9E4
	v_mfma_f32_16x16x16_bf16 v[132:135], a[230:231], v[102:103], v[132:135]// 000000002C90: D3E10084 0E12CDE6
	v_mfma_f32_16x16x16_bf16 v[132:135], a[232:233], v[104:105], v[132:135]// 000000002C98: D3E10084 0E12D1E8
	v_mfma_f32_16x16x16_bf16 v[132:135], a[234:235], v[106:107], v[132:135]// 000000002CA0: D3E10084 0E12D5EA
	buffer_load_dwordx4 a[180:183], v145, s[20:23], 0 offen offset:1024// 000000002CA8: E05C1400 8085B491
	v_mfma_f32_16x16x16_bf16 v[132:135], a[236:237], v[108:109], v[132:135]// 000000002CB0: D3E10084 0E12D9EC
	v_mfma_f32_16x16x16_bf16 v[132:135], a[238:239], v[110:111], v[132:135]// 000000002CB8: D3E10084 0E12DDEE
	v_mfma_f32_16x16x16_bf16 v[132:135], a[240:241], v[112:113], v[132:135]// 000000002CC0: D3E10084 0E12E1F0
	v_mfma_f32_16x16x16_bf16 v[132:135], a[242:243], v[114:115], v[132:135]// 000000002CC8: D3E10084 0E12E5F2
	buffer_load_dwordx4 a[184:187], v146, s[20:23], 0 offen offset:1024// 000000002CD0: E05C1400 8085B892
	v_mfma_f32_16x16x16_bf16 v[132:135], a[244:245], v[116:117], v[132:135]// 000000002CD8: D3E10084 0E12E9F4
	v_mfma_f32_16x16x16_bf16 v[132:135], a[246:247], v[118:119], v[132:135]// 000000002CE0: D3E10084 0E12EDF6
	v_mfma_f32_16x16x16_bf16 v[132:135], a[248:249], v[120:121], v[132:135]// 000000002CE8: D3E10084 0E12F1F8
	v_mfma_f32_16x16x16_bf16 v[132:135], a[250:251], v[122:123], v[132:135]// 000000002CF0: D3E10084 0E12F5FA
	buffer_load_dwordx4 a[188:191], v147, s[20:23], 0 offen offset:1024// 000000002CF8: E05C1400 8085BC93
	v_mfma_f32_16x16x16_bf16 v[132:135], a[252:253], v[124:125], v[132:135]// 000000002D00: D3E10084 0E12F9FC
	v_mfma_f32_16x16x16_bf16 v[132:135], a[254:255], v[126:127], v[132:135]// 000000002D08: D3E10084 0E12FDFE
	s_lshr_b32 s60, s52, 4                                     // 000000002D10: 8F3C8434
	s_add_u32 s60, 48, s60                                     // 000000002D14: 803C3CB0
	s_cmp_ge_u32 s60, s55                                      // 000000002D18: BF09373C
	s_cselect_b32 s56, 0, s56                                  // 000000002D1C: 85383880
	v_mul_u32_u24_dpp v38, v17, v51 row_newbcast:0 row_mask:0xf bank_mask:0xf// 000000002D20: 104C66FA FF015011
	v_mul_u32_u24_dpp v39, v17, v51 row_newbcast:4 row_mask:0xf bank_mask:0xf// 000000002D28: 104E66FA FF015411
	v_mul_u32_u24_dpp v40, v17, v51 row_newbcast:8 row_mask:0xf bank_mask:0xf// 000000002D30: 105066FA FF015811
	v_mul_u32_u24_dpp v41, v17, v51 row_newbcast:12 row_mask:0xf bank_mask:0xf// 000000002D38: 105266FA FF015C11
	v_add_u32_e32 v26, v38, v6                                 // 000000002D40: 68340D26
	v_add_u32_e32 v27, v39, v6                                 // 000000002D44: 68360D27
	v_add_u32_e32 v28, v40, v6                                 // 000000002D48: 68380D28
	v_add_u32_e32 v29, v41, v6                                 // 000000002D4C: 683A0D29
	v_mul_u32_u24_dpp v38, v17, v51 row_newbcast:1 row_mask:0xf bank_mask:0xf// 000000002D50: 104C66FA FF015111
	v_mul_u32_u24_dpp v39, v17, v51 row_newbcast:2 row_mask:0xf bank_mask:0xf// 000000002D58: 104E66FA FF015211
	v_mul_u32_u24_dpp v40, v17, v51 row_newbcast:5 row_mask:0xf bank_mask:0xf// 000000002D60: 105066FA FF015511
	v_mul_u32_u24_dpp v41, v17, v51 row_newbcast:6 row_mask:0xf bank_mask:0xf// 000000002D68: 105266FA FF015611
	v_add_u32_e32 v148, v38, v7                                // 000000002D70: 69280F26
	v_add_u32_e32 v149, v39, v7                                // 000000002D74: 692A0F27
	v_add_u32_e32 v150, v40, v7                                // 000000002D78: 692C0F28
	v_add_u32_e32 v151, v41, v7                                // 000000002D7C: 692E0F29
	v_mul_u32_u24_dpp v38, v17, v51 row_newbcast:9 row_mask:0xf bank_mask:0xf// 000000002D80: 104C66FA FF015911
	v_mul_u32_u24_dpp v39, v17, v51 row_newbcast:10 row_mask:0xf bank_mask:0xf// 000000002D88: 104E66FA FF015A11
	v_mul_u32_u24_dpp v40, v17, v51 row_newbcast:13 row_mask:0xf bank_mask:0xf// 000000002D90: 105066FA FF015D11
	v_mul_u32_u24_dpp v41, v17, v51 row_newbcast:14 row_mask:0xf bank_mask:0xf// 000000002D98: 105266FA FF015E11
	v_add_u32_e32 v152, v38, v7                                // 000000002DA0: 69300F26
	v_add_u32_e32 v153, v39, v7                                // 000000002DA4: 69320F27
	v_add_u32_e32 v154, v40, v7                                // 000000002DA8: 69340F28
	v_add_u32_e32 v155, v41, v7                                // 000000002DAC: 69360F29
	v_add_u32_e32 v1, s56, v1                                  // 000000002DB0: 68020238
	s_addk_i32 s52, 0x100                                      // 000000002DB4: B7340100
	s_cmp_lt_i32 s52, s53                                      // 000000002DB8: BF043534
	s_cbranch_scc0 label_0578                                  // 000000002DBC: BF840001
	s_branch label_018B                                        // 000000002DC0: BF82FC53

0000000000002dc4 <label_0578>:
	s_nop 0                                                    // 000000002DC4: BF800000
	s_nop 0                                                    // 000000002DC8: BF800000
	s_branch label_0968                                        // 000000002DCC: BF8203AD

0000000000002dd0 <label_057B>:
	s_waitcnt vmcnt(16) lgkmcnt(0)                             // 000000002DD0: BF8C4070
	v_mfma_f32_16x16x16_bf16 v[96:99], a[0:1], v[80:81], 0     // 000000002DD4: D3E10060 0A02A100
	buffer_load_dwordx4 a[64:67], v26, s[16:19], 0 offen       // 000000002DDC: E05C1000 8084401A
	v_mfma_f32_16x16x16_bf16 v[96:99], a[2:3], v[82:83], v[96:99]// 000000002DE4: D3E10060 0D82A502
	v_mfma_f32_16x16x16_bf16 v[96:99], a[4:5], v[84:85], v[96:99]// 000000002DEC: D3E10060 0D82A904
	buffer_load_dword v16, v1, s[24:27], 0 offen               // 000000002DF4: E0501000 80061001
	v_mfma_f32_16x16x16_bf16 v[96:99], a[6:7], v[86:87], v[96:99]// 000000002DFC: D3E10060 0D82AD06
	v_mfma_f32_16x16x16_bf16 v[96:99], a[8:9], v[88:89], v[96:99]// 000000002E04: D3E10060 0D82B108
	buffer_load_dwordx4 a[68:71], v26, s[16:19], 0 offen offset:1024// 000000002E0C: E05C1400 8084441A
	v_mfma_f32_16x16x16_bf16 v[96:99], a[10:11], v[90:91], v[96:99]// 000000002E14: D3E10060 0D82B50A
	v_mfma_f32_16x16x16_bf16 v[96:99], a[12:13], v[92:93], v[96:99]// 000000002E1C: D3E10060 0D82B90C
	v_mfma_f32_16x16x16_bf16 v[96:99], a[14:15], v[94:95], v[96:99]// 000000002E24: D3E10060 0D82BD0E
	v_mfma_f32_16x16x16_bf16 v[100:103], a[16:17], v[80:81], 0 // 000000002E2C: D3E10064 0A02A110
	buffer_load_dwordx4 a[72:75], v26, s[16:19], 0 offen offset:2048// 000000002E34: E05C1800 8084481A
	v_mfma_f32_16x16x16_bf16 v[100:103], a[18:19], v[82:83], v[100:103]// 000000002E3C: D3E10064 0D92A512
	v_mfma_f32_16x16x16_bf16 v[100:103], a[20:21], v[84:85], v[100:103]// 000000002E44: D3E10064 0D92A914
	v_mfma_f32_16x16x16_bf16 v[100:103], a[22:23], v[86:87], v[100:103]// 000000002E4C: D3E10064 0D92AD16
	v_mfma_f32_16x16x16_bf16 v[100:103], a[24:25], v[88:89], v[100:103]// 000000002E54: D3E10064 0D92B118
	buffer_load_dwordx4 a[76:79], v26, s[16:19], 0 offen offset:3072// 000000002E5C: E05C1C00 80844C1A
	v_mfma_f32_16x16x16_bf16 v[100:103], a[26:27], v[90:91], v[100:103]// 000000002E64: D3E10064 0D92B51A
	v_mfma_f32_16x16x16_bf16 v[100:103], a[28:29], v[92:93], v[100:103]// 000000002E6C: D3E10064 0D92B91C
	v_mfma_f32_16x16x16_bf16 v[100:103], a[30:31], v[94:95], v[100:103]// 000000002E74: D3E10064 0D92BD1E
	v_mfma_f32_16x16x16_bf16 v[104:107], a[32:33], v[80:81], 0 // 000000002E7C: D3E10068 0A02A120
	buffer_load_dwordx4 a[80:83], v27, s[16:19], 0 offen       // 000000002E84: E05C1000 8084501B
	v_mfma_f32_16x16x16_bf16 v[104:107], a[34:35], v[82:83], v[104:107]// 000000002E8C: D3E10068 0DA2A522
	v_mfma_f32_16x16x16_bf16 v[104:107], a[36:37], v[84:85], v[104:107]// 000000002E94: D3E10068 0DA2A924
	v_mfma_f32_16x16x16_bf16 v[104:107], a[38:39], v[86:87], v[104:107]// 000000002E9C: D3E10068 0DA2AD26
	v_mfma_f32_16x16x16_bf16 v[104:107], a[40:41], v[88:89], v[104:107]// 000000002EA4: D3E10068 0DA2B128
	buffer_load_dwordx4 a[84:87], v27, s[16:19], 0 offen offset:1024// 000000002EAC: E05C1400 8084541B
	v_mfma_f32_16x16x16_bf16 v[104:107], a[42:43], v[90:91], v[104:107]// 000000002EB4: D3E10068 0DA2B52A
	v_mfma_f32_16x16x16_bf16 v[104:107], a[44:45], v[92:93], v[104:107]// 000000002EBC: D3E10068 0DA2B92C
	v_mfma_f32_16x16x16_bf16 v[104:107], a[46:47], v[94:95], v[104:107]// 000000002EC4: D3E10068 0DA2BD2E
	v_mfma_f32_16x16x16_bf16 v[108:111], a[48:49], v[80:81], 0 // 000000002ECC: D3E1006C 0A02A130
	buffer_load_dwordx4 a[88:91], v27, s[16:19], 0 offen offset:2048// 000000002ED4: E05C1800 8084581B
	v_mfma_f32_16x16x16_bf16 v[108:111], a[50:51], v[82:83], v[108:111]// 000000002EDC: D3E1006C 0DB2A532
	v_mfma_f32_16x16x16_bf16 v[108:111], a[52:53], v[84:85], v[108:111]// 000000002EE4: D3E1006C 0DB2A934
	v_mfma_f32_16x16x16_bf16 v[108:111], a[54:55], v[86:87], v[108:111]// 000000002EEC: D3E1006C 0DB2AD36
	v_mfma_f32_16x16x16_bf16 v[108:111], a[56:57], v[88:89], v[108:111]// 000000002EF4: D3E1006C 0DB2B138
	buffer_load_dwordx4 a[92:95], v27, s[16:19], 0 offen offset:3072// 000000002EFC: E05C1C00 80845C1B
	v_mfma_f32_16x16x16_bf16 v[108:111], a[58:59], v[90:91], v[108:111]// 000000002F04: D3E1006C 0DB2B53A
	v_mfma_f32_16x16x16_bf16 v[108:111], a[60:61], v[92:93], v[108:111]// 000000002F0C: D3E1006C 0DB2B93C
	v_mfma_f32_16x16x16_bf16 v[108:111], a[62:63], v[94:95], v[108:111]// 000000002F14: D3E1006C 0DB2BD3E
	buffer_load_dwordx4 a[96:99], v28, s[16:19], 0 offen       // 000000002F1C: E05C1000 8084601C
	s_nop 8                                                    // 000000002F24: BF800008
	v_or_b32_dpp v96, v104, v96 row_shr:8 row_mask:0xf bank_mask:0xf bound_ctrl:1// 000000002F28: 28C0C0FA FF091868
	v_or_b32_dpp v97, v105, v97 row_shr:8 row_mask:0xf bank_mask:0xf bound_ctrl:1// 000000002F30: 28C2C2FA FF091869
	v_or_b32_dpp v98, v106, v98 row_shr:8 row_mask:0xf bank_mask:0xf bound_ctrl:1// 000000002F38: 28C4C4FA FF09186A
	v_or_b32_dpp v99, v107, v99 row_shr:8 row_mask:0xf bank_mask:0xf bound_ctrl:1// 000000002F40: 28C6C6FA FF09186B
	v_or_b32_dpp v100, v108, v100 row_shr:8 row_mask:0xf bank_mask:0xf bound_ctrl:1// 000000002F48: 28C8C8FA FF09186C
	v_or_b32_dpp v101, v109, v101 row_shr:8 row_mask:0xf bank_mask:0xf bound_ctrl:1// 000000002F50: 28CACAFA FF09186D
	v_or_b32_dpp v102, v110, v102 row_shr:8 row_mask:0xf bank_mask:0xf bound_ctrl:1// 000000002F58: 28CCCCFA FF09186E
	v_or_b32_dpp v103, v111, v103 row_shr:8 row_mask:0xf bank_mask:0xf bound_ctrl:1// 000000002F60: 28CECEFA FF09186F
	buffer_load_dwordx4 a[100:103], v28, s[16:19], 0 offen offset:1024// 000000002F68: E05C1400 8084641C
	v_mov_b32_e32 v48, v96                                     // 000000002F70: 7E600360
	v_max3_f32 v48, v96, v97, v48                              // 000000002F74: D1D30030 04C2C360
	v_max3_f32 v48, v98, v99, v48                              // 000000002F7C: D1D30030 04C2C762
	v_max3_f32 v48, v100, v101, v48                            // 000000002F84: D1D30030 04C2CB64
	v_max3_f32 v48, v102, v103, v48                            // 000000002F8C: D1D30030 04C2CF66
	ds_write_b32 v11, v48 offset:4224                          // 000000002F94: D81A1080 0000300B
	buffer_load_dwordx4 a[104:107], v28, s[16:19], 0 offen offset:2048// 000000002F9C: E05C1800 8084681C
	s_waitcnt lgkmcnt(0)                                       // 000000002FA4: BF8CC07F
	s_barrier                                                  // 000000002FA8: BF8A0000
	ds_read_b32 v64, v10 offset:4224                           // 000000002FAC: D86C1080 4000000A
	buffer_load_dwordx4 a[108:111], v28, s[16:19], 0 offen offset:3072// 000000002FB4: E05C1C00 80846C1C
	ds_read_b32 v65, v10 offset:4288                           // 000000002FBC: D86C10C0 4100000A
	ds_read_b32 v66, v10 offset:4352                           // 000000002FC4: D86C1100 4200000A
	ds_read_b32 v67, v10 offset:4416                           // 000000002FCC: D86C1140 4300000A
	ds_read_b32 v68, v10 offset:4480                           // 000000002FD4: D86C1180 4400000A
	ds_read_b32 v69, v10 offset:4544                           // 000000002FDC: D86C11C0 4500000A
	ds_read_b32 v70, v10 offset:4608                           // 000000002FE4: D86C1200 4600000A
	ds_read_b32 v71, v10 offset:4672                           // 000000002FEC: D86C1240 4700000A
	ds_read_b32 v72, v10 offset:4736                           // 000000002FF4: D86C1280 4800000A
	buffer_load_dwordx4 a[112:115], v29, s[16:19], 0 offen     // 000000002FFC: E05C1000 8084701D
	ds_read_b32 v73, v10 offset:4800                           // 000000003004: D86C12C0 4900000A
	ds_read_b32 v74, v10 offset:4864                           // 00000000300C: D86C1300 4A00000A
	ds_read_b32 v75, v10 offset:4928                           // 000000003014: D86C1340 4B00000A
	ds_read_b32 v76, v10 offset:4992                           // 00000000301C: D86C1380 4C00000A
	ds_read_b32 v77, v10 offset:5056                           // 000000003024: D86C13C0 4D00000A
	ds_read_b32 v78, v10 offset:5120                           // 00000000302C: D86C1400 4E00000A
	ds_read_b32 v79, v10 offset:5184                           // 000000003034: D86C1440 4F00000A
	buffer_load_dwordx4 a[116:119], v29, s[16:19], 0 offen offset:1024// 00000000303C: E05C1400 8084741D
	buffer_load_dwordx4 a[120:123], v29, s[16:19], 0 offen offset:2048// 000000003044: E05C1800 8084781D
	s_waitcnt lgkmcnt(0)                                       // 00000000304C: BF8CC07F
	v_max3_f32 v48, v64, v65, v48                              // 000000003050: D1D30030 04C28340
	v_max3_f32 v48, v66, v67, v48                              // 000000003058: D1D30030 04C28742
	v_max3_f32 v48, v68, v69, v48                              // 000000003060: D1D30030 04C28B44
	v_max3_f32 v48, v70, v71, v48                              // 000000003068: D1D30030 04C28F46
	v_max3_f32 v48, v72, v73, v48                              // 000000003070: D1D30030 04C29348
	v_max3_f32 v48, v74, v75, v48                              // 000000003078: D1D30030 04C2974A
	v_max3_f32 v48, v76, v77, v48                              // 000000003080: D1D30030 04C29B4C
	v_max3_f32 v48, v78, v79, v48                              // 000000003088: D1D30030 04C29F4E
	buffer_load_dwordx4 a[124:127], v29, s[16:19], 0 offen offset:3072// 000000003090: E05C1C00 80847C1D
	v_cmp_eq_u32_e64 s[40:41], v52, v14                        // 000000003098: D0CA0028 00021D34
	s_nop 1                                                    // 0000000030A0: BF800001
	v_mov_b32_dpp v38, v48 row_ror:8 row_mask:0xf bank_mask:0xf// 0000000030A4: 7E4C02FA FF012830
	v_max_f32_e32 v48, v48, v38                                // 0000000030AC: 16604D30
	v_max_f32_e32 v15, v48, v14                                // 0000000030B0: 161E1D30
	v_sub_f32_e32 v49, v14, v15                                // 0000000030B4: 04621F0E
	v_cndmask_b32_e64 v49, v49, 0, s[40:41]                    // 0000000030B8: D1000031 00A10131
	v_mov_b32_e32 v14, v15                                     // 0000000030C0: 7E1C030F
	v_mul_f32_e32 v50, s64, v15                                // 0000000030C4: 0A641E40
	v_mul_f32_e32 v49, s64, v49                                // 0000000030C8: 0A626240
	v_exp_f32_e32 v49, v49                                     // 0000000030CC: 7E624131
	buffer_load_dwordx4 a[192:195], v148, s[20:23], 0 offen    // 0000000030D0: E05C1000 8085C094
	v_fma_f32 v96, v96, s64, -v50                              // 0000000030D8: D1CB0060 84C88160
	v_fma_f32 v97, v97, s64, -v50                              // 0000000030E0: D1CB0061 84C88161
	v_fma_f32 v98, v98, s64, -v50                              // 0000000030E8: D1CB0062 84C88162
	v_fma_f32 v99, v99, s64, -v50                              // 0000000030F0: D1CB0063 84C88163
	v_fma_f32 v100, v100, s64, -v50                            // 0000000030F8: D1CB0064 84C88164
	v_fma_f32 v101, v101, s64, -v50                            // 000000003100: D1CB0065 84C88165
	v_fma_f32 v102, v102, s64, -v50                            // 000000003108: D1CB0066 84C88166
	v_fma_f32 v103, v103, s64, -v50                            // 000000003110: D1CB0067 84C88167
	v_exp_f32_e32 v96, v96                                     // 000000003118: 7EC04160
	v_exp_f32_e32 v97, v97                                     // 00000000311C: 7EC24161
	v_exp_f32_e32 v98, v98                                     // 000000003120: 7EC44162
	v_exp_f32_e32 v99, v99                                     // 000000003124: 7EC64163
	v_exp_f32_e32 v100, v100                                   // 000000003128: 7EC84164
	v_exp_f32_e32 v101, v101                                   // 00000000312C: 7ECA4165
	v_exp_f32_e32 v102, v102                                   // 000000003130: 7ECC4166
	v_exp_f32_e32 v103, v103                                   // 000000003134: 7ECE4167
	buffer_load_dwordx4 a[196:199], v149, s[20:23], 0 offen    // 000000003138: E05C1000 8085C495
	v_mul_f32_e32 v42, v49, v42                                // 000000003140: 0A545531
	v_mov_b32_e32 v43, v96                                     // 000000003144: 7E560360
	v_add_f32_e32 v43, v97, v43                                // 000000003148: 02565761
	v_add_f32_e32 v43, v98, v43                                // 00000000314C: 02565762
	v_add_f32_e32 v43, v99, v43                                // 000000003150: 02565763
	v_add_f32_e32 v43, v100, v43                               // 000000003154: 02565764
	v_add_f32_e32 v43, v101, v43                               // 000000003158: 02565765
	v_add_f32_e32 v43, v102, v43                               // 00000000315C: 02565766
	v_add_f32_e32 v43, v103, v43                               // 000000003160: 02565767
	v_add_f32_e32 v42, v43, v42                                // 000000003164: 0254552B
	buffer_load_dwordx4 a[200:203], v150, s[20:23], 0 offen    // 000000003168: E05C1000 8085C896
	v_add_u32_e32 v96, 0x8000, v96                             // 000000003170: 68C0C0FF 00008000
	v_add_u32_e32 v97, 0x8000, v97                             // 000000003178: 68C2C2FF 00008000
	v_perm_b32 v96, v97, v96, s70                              // 000000003180: D1ED0060 011AC161
	v_add_u32_e32 v98, 0x8000, v98                             // 000000003188: 68C4C4FF 00008000
	v_add_u32_e32 v99, 0x8000, v99                             // 000000003190: 68C6C6FF 00008000
	v_perm_b32 v97, v99, v98, s70                              // 000000003198: D1ED0061 011AC563
	v_add_u32_e32 v100, 0x8000, v100                           // 0000000031A0: 68C8C8FF 00008000
	v_add_u32_e32 v101, 0x8000, v101                           // 0000000031A8: 68CACAFF 00008000
	v_perm_b32 v98, v101, v100, s70                            // 0000000031B0: D1ED0062 011AC965
	v_add_u32_e32 v102, 0x8000, v102                           // 0000000031B8: 68CCCCFF 00008000
	v_add_u32_e32 v103, 0x8000, v103                           // 0000000031C0: 68CECEFF 00008000
	v_perm_b32 v99, v103, v102, s70                            // 0000000031C8: D1ED0063 011ACD67
	buffer_load_dwordx4 a[204:207], v151, s[20:23], 0 offen    // 0000000031D0: E05C1000 8085CC97
	buffer_load_dwordx4 a[208:211], v152, s[20:23], 0 offen    // 0000000031D8: E05C1000 8085D098
	ds_write_b64 v13, v[96:97] offset:5248                     // 0000000031E0: D89A1480 0000600D
	ds_write_b64 v13, v[98:99] offset:7296                     // 0000000031E8: D89A1C80 0000620D
	buffer_load_dwordx4 a[212:215], v153, s[20:23], 0 offen    // 0000000031F0: E05C1000 8085D499
	s_waitcnt lgkmcnt(0)                                       // 0000000031F8: BF8CC07F
	s_barrier                                                  // 0000000031FC: BF8A0000
	ds_read_b64 v[96:97], v12 offset:5248                      // 000000003200: D8EC1480 6000000C
	ds_read_b64 v[98:99], v12 offset:5376                      // 000000003208: D8EC1500 6200000C
	ds_read_b64 v[100:101], v12 offset:6272                    // 000000003210: D8EC1880 6400000C
	ds_read_b64 v[102:103], v12 offset:6400                    // 000000003218: D8EC1900 6600000C
	ds_read_b64 v[104:105], v12 offset:7296                    // 000000003220: D8EC1C80 6800000C
	ds_read_b64 v[106:107], v12 offset:7424                    // 000000003228: D8EC1D00 6A00000C
	ds_read_b64 v[108:109], v12 offset:8320                    // 000000003230: D8EC2080 6C00000C
	ds_read_b64 v[110:111], v12 offset:8448                    // 000000003238: D8EC2100 6E00000C
	buffer_load_dwordx4 a[216:219], v154, s[20:23], 0 offen    // 000000003240: E05C1000 8085D89A
	s_waitcnt lgkmcnt(0)                                       // 000000003248: BF8CC07F
	v_mov_b32_dpp v112, v96 row_shl:8 row_mask:0xf bank_mask:0xf bound_ctrl:1// 00000000324C: 7EE002FA FF090860
	v_and_b32_e32 v96, v96, v9                                 // 000000003254: 26C01360
	v_mov_b32_dpp v113, v97 row_shl:8 row_mask:0xf bank_mask:0xf bound_ctrl:1// 000000003258: 7EE202FA FF090861
	v_and_b32_e32 v97, v97, v9                                 // 000000003260: 26C21361
	v_mov_b32_dpp v114, v98 row_shl:8 row_mask:0xf bank_mask:0xf bound_ctrl:1// 000000003264: 7EE402FA FF090862
	v_and_b32_e32 v98, v98, v9                                 // 00000000326C: 26C41362
	v_mov_b32_dpp v115, v99 row_shl:8 row_mask:0xf bank_mask:0xf bound_ctrl:1// 000000003270: 7EE602FA FF090863
	v_and_b32_e32 v99, v99, v9                                 // 000000003278: 26C61363
	v_mov_b32_dpp v116, v100 row_shl:8 row_mask:0xf bank_mask:0xf bound_ctrl:1// 00000000327C: 7EE802FA FF090864
	v_and_b32_e32 v100, v100, v9                               // 000000003284: 26C81364
	v_mov_b32_dpp v117, v101 row_shl:8 row_mask:0xf bank_mask:0xf bound_ctrl:1// 000000003288: 7EEA02FA FF090865
	v_and_b32_e32 v101, v101, v9                               // 000000003290: 26CA1365
	v_mov_b32_dpp v118, v102 row_shl:8 row_mask:0xf bank_mask:0xf bound_ctrl:1// 000000003294: 7EEC02FA FF090866
	v_and_b32_e32 v102, v102, v9                               // 00000000329C: 26CC1366
	v_mov_b32_dpp v119, v103 row_shl:8 row_mask:0xf bank_mask:0xf bound_ctrl:1// 0000000032A0: 7EEE02FA FF090867
	v_and_b32_e32 v103, v103, v9                               // 0000000032A8: 26CE1367
	v_mov_b32_dpp v120, v104 row_shl:8 row_mask:0xf bank_mask:0xf bound_ctrl:1// 0000000032AC: 7EF002FA FF090868
	v_and_b32_e32 v104, v104, v9                               // 0000000032B4: 26D01368
	v_mov_b32_dpp v121, v105 row_shl:8 row_mask:0xf bank_mask:0xf bound_ctrl:1// 0000000032B8: 7EF202FA FF090869
	v_and_b32_e32 v105, v105, v9                               // 0000000032C0: 26D21369
	v_mov_b32_dpp v122, v106 row_shl:8 row_mask:0xf bank_mask:0xf bound_ctrl:1// 0000000032C4: 7EF402FA FF09086A
	v_and_b32_e32 v106, v106, v9                               // 0000000032CC: 26D4136A
	v_mov_b32_dpp v123, v107 row_shl:8 row_mask:0xf bank_mask:0xf bound_ctrl:1// 0000000032D0: 7EF602FA FF09086B
	v_and_b32_e32 v107, v107, v9                               // 0000000032D8: 26D6136B
	v_mov_b32_dpp v124, v108 row_shl:8 row_mask:0xf bank_mask:0xf bound_ctrl:1// 0000000032DC: 7EF802FA FF09086C
	v_and_b32_e32 v108, v108, v9                               // 0000000032E4: 26D8136C
	v_mov_b32_dpp v125, v109 row_shl:8 row_mask:0xf bank_mask:0xf bound_ctrl:1// 0000000032E8: 7EFA02FA FF09086D
	v_and_b32_e32 v109, v109, v9                               // 0000000032F0: 26DA136D
	v_mov_b32_dpp v126, v110 row_shl:8 row_mask:0xf bank_mask:0xf bound_ctrl:1// 0000000032F4: 7EFC02FA FF09086E
	v_and_b32_e32 v110, v110, v9                               // 0000000032FC: 26DC136E
	v_mov_b32_dpp v127, v111 row_shl:8 row_mask:0xf bank_mask:0xf bound_ctrl:1// 000000003300: 7EFE02FA FF09086F
	v_and_b32_e32 v111, v111, v9                               // 000000003308: 26DE136F
	buffer_load_dwordx4 a[220:223], v155, s[20:23], 0 offen    // 00000000330C: E05C1000 8085DC9B
	v_mul_f32_e32 v128, v49, v128                              // 000000003314: 0B010131
	v_mul_f32_e32 v129, v49, v129                              // 000000003318: 0B030331
	v_mul_f32_e32 v130, v49, v130                              // 00000000331C: 0B050531
	v_mul_f32_e32 v131, v49, v131                              // 000000003320: 0B070731
	v_mul_f32_e32 v132, v49, v132                              // 000000003324: 0B090931
	v_mul_f32_e32 v133, v49, v133                              // 000000003328: 0B0B0B31
	v_mul_f32_e32 v134, v49, v134                              // 00000000332C: 0B0D0D31
	v_mul_f32_e32 v135, v49, v135                              // 000000003330: 0B0F0F31
	s_waitcnt vmcnt(24)                                        // 000000003334: BF8C4F78
	v_mfma_f32_16x16x16_bf16 v[128:131], a[128:129], v[96:97], v[128:131]// 000000003338: D3E10080 0E02C180
	buffer_load_dwordx4 a[224:227], v148, s[20:23], 0 offen offset:1024// 000000003340: E05C1400 8085E094
	v_mfma_f32_16x16x16_bf16 v[128:131], a[130:131], v[98:99], v[128:131]// 000000003348: D3E10080 0E02C582
	v_mfma_f32_16x16x16_bf16 v[128:131], a[132:133], v[100:101], v[128:131]// 000000003350: D3E10080 0E02C984
	v_mfma_f32_16x16x16_bf16 v[128:131], a[134:135], v[102:103], v[128:131]// 000000003358: D3E10080 0E02CD86
	v_mfma_f32_16x16x16_bf16 v[128:131], a[136:137], v[104:105], v[128:131]// 000000003360: D3E10080 0E02D188
	buffer_load_dwordx4 a[228:231], v149, s[20:23], 0 offen offset:1024// 000000003368: E05C1400 8085E495
	v_mfma_f32_16x16x16_bf16 v[128:131], a[138:139], v[106:107], v[128:131]// 000000003370: D3E10080 0E02D58A
	v_mfma_f32_16x16x16_bf16 v[128:131], a[140:141], v[108:109], v[128:131]// 000000003378: D3E10080 0E02D98C
	v_mfma_f32_16x16x16_bf16 v[128:131], a[142:143], v[110:111], v[128:131]// 000000003380: D3E10080 0E02DD8E
	v_mfma_f32_16x16x16_bf16 v[128:131], a[144:145], v[112:113], v[128:131]// 000000003388: D3E10080 0E02E190
	buffer_load_dwordx4 a[232:235], v150, s[20:23], 0 offen offset:1024// 000000003390: E05C1400 8085E896
	v_mfma_f32_16x16x16_bf16 v[128:131], a[146:147], v[114:115], v[128:131]// 000000003398: D3E10080 0E02E592
	v_mfma_f32_16x16x16_bf16 v[128:131], a[148:149], v[116:117], v[128:131]// 0000000033A0: D3E10080 0E02E994
	v_mfma_f32_16x16x16_bf16 v[128:131], a[150:151], v[118:119], v[128:131]// 0000000033A8: D3E10080 0E02ED96
	v_mfma_f32_16x16x16_bf16 v[128:131], a[152:153], v[120:121], v[128:131]// 0000000033B0: D3E10080 0E02F198
	buffer_load_dwordx4 a[236:239], v151, s[20:23], 0 offen offset:1024// 0000000033B8: E05C1400 8085EC97
	v_mfma_f32_16x16x16_bf16 v[128:131], a[154:155], v[122:123], v[128:131]// 0000000033C0: D3E10080 0E02F59A
	v_mfma_f32_16x16x16_bf16 v[128:131], a[156:157], v[124:125], v[128:131]// 0000000033C8: D3E10080 0E02F99C
	v_mfma_f32_16x16x16_bf16 v[128:131], a[158:159], v[126:127], v[128:131]// 0000000033D0: D3E10080 0E02FD9E
	v_mfma_f32_16x16x16_bf16 v[132:135], a[160:161], v[96:97], v[132:135]// 0000000033D8: D3E10084 0E12C1A0
	buffer_load_dwordx4 a[240:243], v152, s[20:23], 0 offen offset:1024// 0000000033E0: E05C1400 8085F098
	v_mfma_f32_16x16x16_bf16 v[132:135], a[162:163], v[98:99], v[132:135]// 0000000033E8: D3E10084 0E12C5A2
	v_mfma_f32_16x16x16_bf16 v[132:135], a[164:165], v[100:101], v[132:135]// 0000000033F0: D3E10084 0E12C9A4
	v_mfma_f32_16x16x16_bf16 v[132:135], a[166:167], v[102:103], v[132:135]// 0000000033F8: D3E10084 0E12CDA6
	v_mfma_f32_16x16x16_bf16 v[132:135], a[168:169], v[104:105], v[132:135]// 000000003400: D3E10084 0E12D1A8
	buffer_load_dwordx4 a[244:247], v153, s[20:23], 0 offen offset:1024// 000000003408: E05C1400 8085F499
	v_mfma_f32_16x16x16_bf16 v[132:135], a[170:171], v[106:107], v[132:135]// 000000003410: D3E10084 0E12D5AA
	v_mfma_f32_16x16x16_bf16 v[132:135], a[172:173], v[108:109], v[132:135]// 000000003418: D3E10084 0E12D9AC
	v_mfma_f32_16x16x16_bf16 v[132:135], a[174:175], v[110:111], v[132:135]// 000000003420: D3E10084 0E12DDAE
	v_mfma_f32_16x16x16_bf16 v[132:135], a[176:177], v[112:113], v[132:135]// 000000003428: D3E10084 0E12E1B0
	buffer_load_dwordx4 a[248:251], v154, s[20:23], 0 offen offset:1024// 000000003430: E05C1400 8085F89A
	v_mfma_f32_16x16x16_bf16 v[132:135], a[178:179], v[114:115], v[132:135]// 000000003438: D3E10084 0E12E5B2
	v_mfma_f32_16x16x16_bf16 v[132:135], a[180:181], v[116:117], v[132:135]// 000000003440: D3E10084 0E12E9B4
	v_mfma_f32_16x16x16_bf16 v[132:135], a[182:183], v[118:119], v[132:135]// 000000003448: D3E10084 0E12EDB6
	v_mfma_f32_16x16x16_bf16 v[132:135], a[184:185], v[120:121], v[132:135]// 000000003450: D3E10084 0E12F1B8
	buffer_load_dwordx4 a[252:255], v155, s[20:23], 0 offen offset:1024// 000000003458: E05C1400 8085FC9B
	v_mfma_f32_16x16x16_bf16 v[132:135], a[186:187], v[122:123], v[132:135]// 000000003460: D3E10084 0E12F5BA
	v_mfma_f32_16x16x16_bf16 v[132:135], a[188:189], v[124:125], v[132:135]// 000000003468: D3E10084 0E12F9BC
	v_mfma_f32_16x16x16_bf16 v[132:135], a[190:191], v[126:127], v[132:135]// 000000003470: D3E10084 0E12FDBE
	s_lshr_b32 s60, s52, 4                                     // 000000003478: 8F3C8434
	s_add_u32 s60, 48, s60                                     // 00000000347C: 803C3CB0
	s_cmp_ge_u32 s60, s55                                      // 000000003480: BF09373C
	s_cselect_b32 s56, 0, s56                                  // 000000003484: 85383880
	v_mul_u32_u24_dpp v38, v16, v51 row_newbcast:0 row_mask:0xf bank_mask:0xf// 000000003488: 104C66FA FF015010
	v_mul_u32_u24_dpp v39, v16, v51 row_newbcast:4 row_mask:0xf bank_mask:0xf// 000000003490: 104E66FA FF015410
	v_mul_u32_u24_dpp v40, v16, v51 row_newbcast:8 row_mask:0xf bank_mask:0xf// 000000003498: 105066FA FF015810
	v_mul_u32_u24_dpp v41, v16, v51 row_newbcast:12 row_mask:0xf bank_mask:0xf// 0000000034A0: 105266FA FF015C10
	v_add_u32_e32 v22, v38, v6                                 // 0000000034A8: 682C0D26
	v_add_u32_e32 v23, v39, v6                                 // 0000000034AC: 682E0D27
	v_add_u32_e32 v24, v40, v6                                 // 0000000034B0: 68300D28
	v_add_u32_e32 v25, v41, v6                                 // 0000000034B4: 68320D29
	v_mul_u32_u24_dpp v38, v16, v51 row_newbcast:1 row_mask:0xf bank_mask:0xf// 0000000034B8: 104C66FA FF015110
	v_mul_u32_u24_dpp v39, v16, v51 row_newbcast:2 row_mask:0xf bank_mask:0xf// 0000000034C0: 104E66FA FF015210
	v_mul_u32_u24_dpp v40, v16, v51 row_newbcast:5 row_mask:0xf bank_mask:0xf// 0000000034C8: 105066FA FF015510
	v_mul_u32_u24_dpp v41, v16, v51 row_newbcast:6 row_mask:0xf bank_mask:0xf// 0000000034D0: 105266FA FF015610
	v_add_u32_e32 v140, v38, v7                                // 0000000034D8: 69180F26
	v_add_u32_e32 v141, v39, v7                                // 0000000034DC: 691A0F27
	v_add_u32_e32 v142, v40, v7                                // 0000000034E0: 691C0F28
	v_add_u32_e32 v143, v41, v7                                // 0000000034E4: 691E0F29
	v_mul_u32_u24_dpp v38, v16, v51 row_newbcast:9 row_mask:0xf bank_mask:0xf// 0000000034E8: 104C66FA FF015910
	v_mul_u32_u24_dpp v39, v16, v51 row_newbcast:10 row_mask:0xf bank_mask:0xf// 0000000034F0: 104E66FA FF015A10
	v_mul_u32_u24_dpp v40, v16, v51 row_newbcast:13 row_mask:0xf bank_mask:0xf// 0000000034F8: 105066FA FF015D10
	v_mul_u32_u24_dpp v41, v16, v51 row_newbcast:14 row_mask:0xf bank_mask:0xf// 000000003500: 105266FA FF015E10
	v_add_u32_e32 v144, v38, v7                                // 000000003508: 69200F26
	v_add_u32_e32 v145, v39, v7                                // 00000000350C: 69220F27
	v_add_u32_e32 v146, v40, v7                                // 000000003510: 69240F28
	v_add_u32_e32 v147, v41, v7                                // 000000003514: 69260F29
	v_add_u32_e32 v1, s56, v1                                  // 000000003518: 68020238
	s_addk_i32 s52, 0x100                                      // 00000000351C: B7340100
	s_cmp_lt_i32 s52, s53                                      // 000000003520: BF043534
	s_cbranch_scc0 label_0578                                  // 000000003524: BF84FE27
	s_waitcnt vmcnt(16) lgkmcnt(0)                             // 000000003528: BF8C4070
	v_mfma_f32_16x16x16_bf16 v[96:99], a[64:65], v[80:81], 0   // 00000000352C: D3E10060 0A02A140
	buffer_load_dwordx4 a[0:3], v22, s[16:19], 0 offen         // 000000003534: E05C1000 80840016
	v_mfma_f32_16x16x16_bf16 v[96:99], a[66:67], v[82:83], v[96:99]// 00000000353C: D3E10060 0D82A542
	v_mfma_f32_16x16x16_bf16 v[96:99], a[68:69], v[84:85], v[96:99]// 000000003544: D3E10060 0D82A944
	buffer_load_dword v17, v1, s[24:27], 0 offen               // 00000000354C: E0501000 80061101
	v_mfma_f32_16x16x16_bf16 v[96:99], a[70:71], v[86:87], v[96:99]// 000000003554: D3E10060 0D82AD46
	v_mfma_f32_16x16x16_bf16 v[96:99], a[72:73], v[88:89], v[96:99]// 00000000355C: D3E10060 0D82B148
	buffer_load_dwordx4 a[4:7], v22, s[16:19], 0 offen offset:1024// 000000003564: E05C1400 80840416
	v_mfma_f32_16x16x16_bf16 v[96:99], a[74:75], v[90:91], v[96:99]// 00000000356C: D3E10060 0D82B54A
	v_mfma_f32_16x16x16_bf16 v[96:99], a[76:77], v[92:93], v[96:99]// 000000003574: D3E10060 0D82B94C
	v_mfma_f32_16x16x16_bf16 v[96:99], a[78:79], v[94:95], v[96:99]// 00000000357C: D3E10060 0D82BD4E
	v_mfma_f32_16x16x16_bf16 v[100:103], a[80:81], v[80:81], 0 // 000000003584: D3E10064 0A02A150
	buffer_load_dwordx4 a[8:11], v22, s[16:19], 0 offen offset:2048// 00000000358C: E05C1800 80840816
	v_mfma_f32_16x16x16_bf16 v[100:103], a[82:83], v[82:83], v[100:103]// 000000003594: D3E10064 0D92A552
	v_mfma_f32_16x16x16_bf16 v[100:103], a[84:85], v[84:85], v[100:103]// 00000000359C: D3E10064 0D92A954
	v_mfma_f32_16x16x16_bf16 v[100:103], a[86:87], v[86:87], v[100:103]// 0000000035A4: D3E10064 0D92AD56
	v_mfma_f32_16x16x16_bf16 v[100:103], a[88:89], v[88:89], v[100:103]// 0000000035AC: D3E10064 0D92B158
	buffer_load_dwordx4 a[12:15], v22, s[16:19], 0 offen offset:3072// 0000000035B4: E05C1C00 80840C16
	v_mfma_f32_16x16x16_bf16 v[100:103], a[90:91], v[90:91], v[100:103]// 0000000035BC: D3E10064 0D92B55A
	v_mfma_f32_16x16x16_bf16 v[100:103], a[92:93], v[92:93], v[100:103]// 0000000035C4: D3E10064 0D92B95C
	v_mfma_f32_16x16x16_bf16 v[100:103], a[94:95], v[94:95], v[100:103]// 0000000035CC: D3E10064 0D92BD5E
	v_mfma_f32_16x16x16_bf16 v[104:107], a[96:97], v[80:81], 0 // 0000000035D4: D3E10068 0A02A160
	buffer_load_dwordx4 a[16:19], v23, s[16:19], 0 offen       // 0000000035DC: E05C1000 80841017
	v_mfma_f32_16x16x16_bf16 v[104:107], a[98:99], v[82:83], v[104:107]// 0000000035E4: D3E10068 0DA2A562
	v_mfma_f32_16x16x16_bf16 v[104:107], a[100:101], v[84:85], v[104:107]// 0000000035EC: D3E10068 0DA2A964
	v_mfma_f32_16x16x16_bf16 v[104:107], a[102:103], v[86:87], v[104:107]// 0000000035F4: D3E10068 0DA2AD66
	v_mfma_f32_16x16x16_bf16 v[104:107], a[104:105], v[88:89], v[104:107]// 0000000035FC: D3E10068 0DA2B168
	buffer_load_dwordx4 a[20:23], v23, s[16:19], 0 offen offset:1024// 000000003604: E05C1400 80841417
	v_mfma_f32_16x16x16_bf16 v[104:107], a[106:107], v[90:91], v[104:107]// 00000000360C: D3E10068 0DA2B56A
	v_mfma_f32_16x16x16_bf16 v[104:107], a[108:109], v[92:93], v[104:107]// 000000003614: D3E10068 0DA2B96C
	v_mfma_f32_16x16x16_bf16 v[104:107], a[110:111], v[94:95], v[104:107]// 00000000361C: D3E10068 0DA2BD6E
	v_mfma_f32_16x16x16_bf16 v[108:111], a[112:113], v[80:81], 0// 000000003624: D3E1006C 0A02A170
	buffer_load_dwordx4 a[24:27], v23, s[16:19], 0 offen offset:2048// 00000000362C: E05C1800 80841817
	v_mfma_f32_16x16x16_bf16 v[108:111], a[114:115], v[82:83], v[108:111]// 000000003634: D3E1006C 0DB2A572
	v_mfma_f32_16x16x16_bf16 v[108:111], a[116:117], v[84:85], v[108:111]// 00000000363C: D3E1006C 0DB2A974
	v_mfma_f32_16x16x16_bf16 v[108:111], a[118:119], v[86:87], v[108:111]// 000000003644: D3E1006C 0DB2AD76
	v_mfma_f32_16x16x16_bf16 v[108:111], a[120:121], v[88:89], v[108:111]// 00000000364C: D3E1006C 0DB2B178
	buffer_load_dwordx4 a[28:31], v23, s[16:19], 0 offen offset:3072// 000000003654: E05C1C00 80841C17
	v_mfma_f32_16x16x16_bf16 v[108:111], a[122:123], v[90:91], v[108:111]// 00000000365C: D3E1006C 0DB2B57A
	v_mfma_f32_16x16x16_bf16 v[108:111], a[124:125], v[92:93], v[108:111]// 000000003664: D3E1006C 0DB2B97C
	v_mfma_f32_16x16x16_bf16 v[108:111], a[126:127], v[94:95], v[108:111]// 00000000366C: D3E1006C 0DB2BD7E
	buffer_load_dwordx4 a[32:35], v24, s[16:19], 0 offen       // 000000003674: E05C1000 80842018
	s_nop 8                                                    // 00000000367C: BF800008
	v_or_b32_dpp v96, v104, v96 row_shr:8 row_mask:0xf bank_mask:0xf bound_ctrl:1// 000000003680: 28C0C0FA FF091868
	v_or_b32_dpp v97, v105, v97 row_shr:8 row_mask:0xf bank_mask:0xf bound_ctrl:1// 000000003688: 28C2C2FA FF091869
	v_or_b32_dpp v98, v106, v98 row_shr:8 row_mask:0xf bank_mask:0xf bound_ctrl:1// 000000003690: 28C4C4FA FF09186A
	v_or_b32_dpp v99, v107, v99 row_shr:8 row_mask:0xf bank_mask:0xf bound_ctrl:1// 000000003698: 28C6C6FA FF09186B
	v_or_b32_dpp v100, v108, v100 row_shr:8 row_mask:0xf bank_mask:0xf bound_ctrl:1// 0000000036A0: 28C8C8FA FF09186C
	v_or_b32_dpp v101, v109, v101 row_shr:8 row_mask:0xf bank_mask:0xf bound_ctrl:1// 0000000036A8: 28CACAFA FF09186D
	v_or_b32_dpp v102, v110, v102 row_shr:8 row_mask:0xf bank_mask:0xf bound_ctrl:1// 0000000036B0: 28CCCCFA FF09186E
	v_or_b32_dpp v103, v111, v103 row_shr:8 row_mask:0xf bank_mask:0xf bound_ctrl:1// 0000000036B8: 28CECEFA FF09186F
	buffer_load_dwordx4 a[36:39], v24, s[16:19], 0 offen offset:1024// 0000000036C0: E05C1400 80842418
	v_mov_b32_e32 v48, v96                                     // 0000000036C8: 7E600360
	v_max3_f32 v48, v96, v97, v48                              // 0000000036CC: D1D30030 04C2C360
	v_max3_f32 v48, v98, v99, v48                              // 0000000036D4: D1D30030 04C2C762
	v_max3_f32 v48, v100, v101, v48                            // 0000000036DC: D1D30030 04C2CB64
	v_max3_f32 v48, v102, v103, v48                            // 0000000036E4: D1D30030 04C2CF66
	ds_write_b32 v11, v48 offset:4224                          // 0000000036EC: D81A1080 0000300B
	buffer_load_dwordx4 a[40:43], v24, s[16:19], 0 offen offset:2048// 0000000036F4: E05C1800 80842818
	s_waitcnt lgkmcnt(0)                                       // 0000000036FC: BF8CC07F
	s_barrier                                                  // 000000003700: BF8A0000
	ds_read_b32 v64, v10 offset:4224                           // 000000003704: D86C1080 4000000A
	buffer_load_dwordx4 a[44:47], v24, s[16:19], 0 offen offset:3072// 00000000370C: E05C1C00 80842C18
	ds_read_b32 v65, v10 offset:4288                           // 000000003714: D86C10C0 4100000A
	ds_read_b32 v66, v10 offset:4352                           // 00000000371C: D86C1100 4200000A
	ds_read_b32 v67, v10 offset:4416                           // 000000003724: D86C1140 4300000A
	ds_read_b32 v68, v10 offset:4480                           // 00000000372C: D86C1180 4400000A
	ds_read_b32 v69, v10 offset:4544                           // 000000003734: D86C11C0 4500000A
	ds_read_b32 v70, v10 offset:4608                           // 00000000373C: D86C1200 4600000A
	ds_read_b32 v71, v10 offset:4672                           // 000000003744: D86C1240 4700000A
	ds_read_b32 v72, v10 offset:4736                           // 00000000374C: D86C1280 4800000A
	buffer_load_dwordx4 a[48:51], v25, s[16:19], 0 offen       // 000000003754: E05C1000 80843019
	ds_read_b32 v73, v10 offset:4800                           // 00000000375C: D86C12C0 4900000A
	ds_read_b32 v74, v10 offset:4864                           // 000000003764: D86C1300 4A00000A
	ds_read_b32 v75, v10 offset:4928                           // 00000000376C: D86C1340 4B00000A
	ds_read_b32 v76, v10 offset:4992                           // 000000003774: D86C1380 4C00000A
	ds_read_b32 v77, v10 offset:5056                           // 00000000377C: D86C13C0 4D00000A
	ds_read_b32 v78, v10 offset:5120                           // 000000003784: D86C1400 4E00000A
	ds_read_b32 v79, v10 offset:5184                           // 00000000378C: D86C1440 4F00000A
	buffer_load_dwordx4 a[52:55], v25, s[16:19], 0 offen offset:1024// 000000003794: E05C1400 80843419
	buffer_load_dwordx4 a[56:59], v25, s[16:19], 0 offen offset:2048// 00000000379C: E05C1800 80843819
	s_waitcnt lgkmcnt(0)                                       // 0000000037A4: BF8CC07F
	v_max3_f32 v48, v64, v65, v48                              // 0000000037A8: D1D30030 04C28340
	v_max3_f32 v48, v66, v67, v48                              // 0000000037B0: D1D30030 04C28742
	v_max3_f32 v48, v68, v69, v48                              // 0000000037B8: D1D30030 04C28B44
	v_max3_f32 v48, v70, v71, v48                              // 0000000037C0: D1D30030 04C28F46
	v_max3_f32 v48, v72, v73, v48                              // 0000000037C8: D1D30030 04C29348
	v_max3_f32 v48, v74, v75, v48                              // 0000000037D0: D1D30030 04C2974A
	v_max3_f32 v48, v76, v77, v48                              // 0000000037D8: D1D30030 04C29B4C
	v_max3_f32 v48, v78, v79, v48                              // 0000000037E0: D1D30030 04C29F4E
	buffer_load_dwordx4 a[60:63], v25, s[16:19], 0 offen offset:3072// 0000000037E8: E05C1C00 80843C19
	v_cmp_eq_u32_e64 s[40:41], v52, v14                        // 0000000037F0: D0CA0028 00021D34
	s_nop 1                                                    // 0000000037F8: BF800001
	v_mov_b32_dpp v38, v48 row_ror:8 row_mask:0xf bank_mask:0xf// 0000000037FC: 7E4C02FA FF012830
	v_max_f32_e32 v48, v48, v38                                // 000000003804: 16604D30
	v_max_f32_e32 v15, v48, v14                                // 000000003808: 161E1D30
	v_sub_f32_e32 v49, v14, v15                                // 00000000380C: 04621F0E
	v_cndmask_b32_e64 v49, v49, 0, s[40:41]                    // 000000003810: D1000031 00A10131
	v_mov_b32_e32 v14, v15                                     // 000000003818: 7E1C030F
	v_mul_f32_e32 v50, s64, v15                                // 00000000381C: 0A641E40
	v_mul_f32_e32 v49, s64, v49                                // 000000003820: 0A626240
	v_exp_f32_e32 v49, v49                                     // 000000003824: 7E624131
	buffer_load_dwordx4 a[128:131], v140, s[20:23], 0 offen    // 000000003828: E05C1000 8085808C
	v_fma_f32 v96, v96, s64, -v50                              // 000000003830: D1CB0060 84C88160
	v_fma_f32 v97, v97, s64, -v50                              // 000000003838: D1CB0061 84C88161
	v_fma_f32 v98, v98, s64, -v50                              // 000000003840: D1CB0062 84C88162
	v_fma_f32 v99, v99, s64, -v50                              // 000000003848: D1CB0063 84C88163
	v_fma_f32 v100, v100, s64, -v50                            // 000000003850: D1CB0064 84C88164
	v_fma_f32 v101, v101, s64, -v50                            // 000000003858: D1CB0065 84C88165
	v_fma_f32 v102, v102, s64, -v50                            // 000000003860: D1CB0066 84C88166
	v_fma_f32 v103, v103, s64, -v50                            // 000000003868: D1CB0067 84C88167
	v_exp_f32_e32 v96, v96                                     // 000000003870: 7EC04160
	v_exp_f32_e32 v97, v97                                     // 000000003874: 7EC24161
	v_exp_f32_e32 v98, v98                                     // 000000003878: 7EC44162
	v_exp_f32_e32 v99, v99                                     // 00000000387C: 7EC64163
	v_exp_f32_e32 v100, v100                                   // 000000003880: 7EC84164
	v_exp_f32_e32 v101, v101                                   // 000000003884: 7ECA4165
	v_exp_f32_e32 v102, v102                                   // 000000003888: 7ECC4166
	v_exp_f32_e32 v103, v103                                   // 00000000388C: 7ECE4167
	buffer_load_dwordx4 a[132:135], v141, s[20:23], 0 offen    // 000000003890: E05C1000 8085848D
	v_mul_f32_e32 v42, v49, v42                                // 000000003898: 0A545531
	v_mov_b32_e32 v43, v96                                     // 00000000389C: 7E560360
	v_add_f32_e32 v43, v97, v43                                // 0000000038A0: 02565761
	v_add_f32_e32 v43, v98, v43                                // 0000000038A4: 02565762
	v_add_f32_e32 v43, v99, v43                                // 0000000038A8: 02565763
	v_add_f32_e32 v43, v100, v43                               // 0000000038AC: 02565764
	v_add_f32_e32 v43, v101, v43                               // 0000000038B0: 02565765
	v_add_f32_e32 v43, v102, v43                               // 0000000038B4: 02565766
	v_add_f32_e32 v43, v103, v43                               // 0000000038B8: 02565767
	v_add_f32_e32 v42, v43, v42                                // 0000000038BC: 0254552B
	buffer_load_dwordx4 a[136:139], v142, s[20:23], 0 offen    // 0000000038C0: E05C1000 8085888E
	v_add_u32_e32 v96, 0x8000, v96                             // 0000000038C8: 68C0C0FF 00008000
	v_add_u32_e32 v97, 0x8000, v97                             // 0000000038D0: 68C2C2FF 00008000
	v_perm_b32 v96, v97, v96, s70                              // 0000000038D8: D1ED0060 011AC161
	v_add_u32_e32 v98, 0x8000, v98                             // 0000000038E0: 68C4C4FF 00008000
	v_add_u32_e32 v99, 0x8000, v99                             // 0000000038E8: 68C6C6FF 00008000
	v_perm_b32 v97, v99, v98, s70                              // 0000000038F0: D1ED0061 011AC563
	v_add_u32_e32 v100, 0x8000, v100                           // 0000000038F8: 68C8C8FF 00008000
	v_add_u32_e32 v101, 0x8000, v101                           // 000000003900: 68CACAFF 00008000
	v_perm_b32 v98, v101, v100, s70                            // 000000003908: D1ED0062 011AC965
	v_add_u32_e32 v102, 0x8000, v102                           // 000000003910: 68CCCCFF 00008000
	v_add_u32_e32 v103, 0x8000, v103                           // 000000003918: 68CECEFF 00008000
	v_perm_b32 v99, v103, v102, s70                            // 000000003920: D1ED0063 011ACD67
	buffer_load_dwordx4 a[140:143], v143, s[20:23], 0 offen    // 000000003928: E05C1000 80858C8F
	buffer_load_dwordx4 a[144:147], v144, s[20:23], 0 offen    // 000000003930: E05C1000 80859090
	ds_write_b64 v13, v[96:97] offset:5248                     // 000000003938: D89A1480 0000600D
	ds_write_b64 v13, v[98:99] offset:7296                     // 000000003940: D89A1C80 0000620D
	buffer_load_dwordx4 a[148:151], v145, s[20:23], 0 offen    // 000000003948: E05C1000 80859491
	s_waitcnt lgkmcnt(0)                                       // 000000003950: BF8CC07F
	s_barrier                                                  // 000000003954: BF8A0000
	ds_read_b64 v[96:97], v12 offset:5248                      // 000000003958: D8EC1480 6000000C
	ds_read_b64 v[98:99], v12 offset:5376                      // 000000003960: D8EC1500 6200000C
	ds_read_b64 v[100:101], v12 offset:6272                    // 000000003968: D8EC1880 6400000C
	ds_read_b64 v[102:103], v12 offset:6400                    // 000000003970: D8EC1900 6600000C
	ds_read_b64 v[104:105], v12 offset:7296                    // 000000003978: D8EC1C80 6800000C
	ds_read_b64 v[106:107], v12 offset:7424                    // 000000003980: D8EC1D00 6A00000C
	ds_read_b64 v[108:109], v12 offset:8320                    // 000000003988: D8EC2080 6C00000C
	ds_read_b64 v[110:111], v12 offset:8448                    // 000000003990: D8EC2100 6E00000C
	buffer_load_dwordx4 a[152:155], v146, s[20:23], 0 offen    // 000000003998: E05C1000 80859892
	s_waitcnt lgkmcnt(0)                                       // 0000000039A0: BF8CC07F
	v_mov_b32_dpp v112, v96 row_shl:8 row_mask:0xf bank_mask:0xf bound_ctrl:1// 0000000039A4: 7EE002FA FF090860
	v_and_b32_e32 v96, v96, v9                                 // 0000000039AC: 26C01360
	v_mov_b32_dpp v113, v97 row_shl:8 row_mask:0xf bank_mask:0xf bound_ctrl:1// 0000000039B0: 7EE202FA FF090861
	v_and_b32_e32 v97, v97, v9                                 // 0000000039B8: 26C21361
	v_mov_b32_dpp v114, v98 row_shl:8 row_mask:0xf bank_mask:0xf bound_ctrl:1// 0000000039BC: 7EE402FA FF090862
	v_and_b32_e32 v98, v98, v9                                 // 0000000039C4: 26C41362
	v_mov_b32_dpp v115, v99 row_shl:8 row_mask:0xf bank_mask:0xf bound_ctrl:1// 0000000039C8: 7EE602FA FF090863
	v_and_b32_e32 v99, v99, v9                                 // 0000000039D0: 26C61363
	v_mov_b32_dpp v116, v100 row_shl:8 row_mask:0xf bank_mask:0xf bound_ctrl:1// 0000000039D4: 7EE802FA FF090864
	v_and_b32_e32 v100, v100, v9                               // 0000000039DC: 26C81364
	v_mov_b32_dpp v117, v101 row_shl:8 row_mask:0xf bank_mask:0xf bound_ctrl:1// 0000000039E0: 7EEA02FA FF090865
	v_and_b32_e32 v101, v101, v9                               // 0000000039E8: 26CA1365
	v_mov_b32_dpp v118, v102 row_shl:8 row_mask:0xf bank_mask:0xf bound_ctrl:1// 0000000039EC: 7EEC02FA FF090866
	v_and_b32_e32 v102, v102, v9                               // 0000000039F4: 26CC1366
	v_mov_b32_dpp v119, v103 row_shl:8 row_mask:0xf bank_mask:0xf bound_ctrl:1// 0000000039F8: 7EEE02FA FF090867
	v_and_b32_e32 v103, v103, v9                               // 000000003A00: 26CE1367
	v_mov_b32_dpp v120, v104 row_shl:8 row_mask:0xf bank_mask:0xf bound_ctrl:1// 000000003A04: 7EF002FA FF090868
	v_and_b32_e32 v104, v104, v9                               // 000000003A0C: 26D01368
	v_mov_b32_dpp v121, v105 row_shl:8 row_mask:0xf bank_mask:0xf bound_ctrl:1// 000000003A10: 7EF202FA FF090869
	v_and_b32_e32 v105, v105, v9                               // 000000003A18: 26D21369
	v_mov_b32_dpp v122, v106 row_shl:8 row_mask:0xf bank_mask:0xf bound_ctrl:1// 000000003A1C: 7EF402FA FF09086A
	v_and_b32_e32 v106, v106, v9                               // 000000003A24: 26D4136A
	v_mov_b32_dpp v123, v107 row_shl:8 row_mask:0xf bank_mask:0xf bound_ctrl:1// 000000003A28: 7EF602FA FF09086B
	v_and_b32_e32 v107, v107, v9                               // 000000003A30: 26D6136B
	v_mov_b32_dpp v124, v108 row_shl:8 row_mask:0xf bank_mask:0xf bound_ctrl:1// 000000003A34: 7EF802FA FF09086C
	v_and_b32_e32 v108, v108, v9                               // 000000003A3C: 26D8136C
	v_mov_b32_dpp v125, v109 row_shl:8 row_mask:0xf bank_mask:0xf bound_ctrl:1// 000000003A40: 7EFA02FA FF09086D
	v_and_b32_e32 v109, v109, v9                               // 000000003A48: 26DA136D
	v_mov_b32_dpp v126, v110 row_shl:8 row_mask:0xf bank_mask:0xf bound_ctrl:1// 000000003A4C: 7EFC02FA FF09086E
	v_and_b32_e32 v110, v110, v9                               // 000000003A54: 26DC136E
	v_mov_b32_dpp v127, v111 row_shl:8 row_mask:0xf bank_mask:0xf bound_ctrl:1// 000000003A58: 7EFE02FA FF09086F
	v_and_b32_e32 v111, v111, v9                               // 000000003A60: 26DE136F
	buffer_load_dwordx4 a[156:159], v147, s[20:23], 0 offen    // 000000003A64: E05C1000 80859C93
	v_mul_f32_e32 v128, v49, v128                              // 000000003A6C: 0B010131
	v_mul_f32_e32 v129, v49, v129                              // 000000003A70: 0B030331
	v_mul_f32_e32 v130, v49, v130                              // 000000003A74: 0B050531
	v_mul_f32_e32 v131, v49, v131                              // 000000003A78: 0B070731
	v_mul_f32_e32 v132, v49, v132                              // 000000003A7C: 0B090931
	v_mul_f32_e32 v133, v49, v133                              // 000000003A80: 0B0B0B31
	v_mul_f32_e32 v134, v49, v134                              // 000000003A84: 0B0D0D31
	v_mul_f32_e32 v135, v49, v135                              // 000000003A88: 0B0F0F31
	s_waitcnt vmcnt(24)                                        // 000000003A8C: BF8C4F78
	v_mfma_f32_16x16x16_bf16 v[128:131], a[192:193], v[96:97], v[128:131]// 000000003A90: D3E10080 0E02C1C0
	buffer_load_dwordx4 a[160:163], v140, s[20:23], 0 offen offset:1024// 000000003A98: E05C1400 8085A08C
	v_mfma_f32_16x16x16_bf16 v[128:131], a[194:195], v[98:99], v[128:131]// 000000003AA0: D3E10080 0E02C5C2
	v_mfma_f32_16x16x16_bf16 v[128:131], a[196:197], v[100:101], v[128:131]// 000000003AA8: D3E10080 0E02C9C4
	v_mfma_f32_16x16x16_bf16 v[128:131], a[198:199], v[102:103], v[128:131]// 000000003AB0: D3E10080 0E02CDC6
	v_mfma_f32_16x16x16_bf16 v[128:131], a[200:201], v[104:105], v[128:131]// 000000003AB8: D3E10080 0E02D1C8
	buffer_load_dwordx4 a[164:167], v141, s[20:23], 0 offen offset:1024// 000000003AC0: E05C1400 8085A48D
	v_mfma_f32_16x16x16_bf16 v[128:131], a[202:203], v[106:107], v[128:131]// 000000003AC8: D3E10080 0E02D5CA
	v_mfma_f32_16x16x16_bf16 v[128:131], a[204:205], v[108:109], v[128:131]// 000000003AD0: D3E10080 0E02D9CC
	v_mfma_f32_16x16x16_bf16 v[128:131], a[206:207], v[110:111], v[128:131]// 000000003AD8: D3E10080 0E02DDCE
	v_mfma_f32_16x16x16_bf16 v[128:131], a[208:209], v[112:113], v[128:131]// 000000003AE0: D3E10080 0E02E1D0
	buffer_load_dwordx4 a[168:171], v142, s[20:23], 0 offen offset:1024// 000000003AE8: E05C1400 8085A88E
	v_mfma_f32_16x16x16_bf16 v[128:131], a[210:211], v[114:115], v[128:131]// 000000003AF0: D3E10080 0E02E5D2
	v_mfma_f32_16x16x16_bf16 v[128:131], a[212:213], v[116:117], v[128:131]// 000000003AF8: D3E10080 0E02E9D4
	v_mfma_f32_16x16x16_bf16 v[128:131], a[214:215], v[118:119], v[128:131]// 000000003B00: D3E10080 0E02EDD6
	v_mfma_f32_16x16x16_bf16 v[128:131], a[216:217], v[120:121], v[128:131]// 000000003B08: D3E10080 0E02F1D8
	buffer_load_dwordx4 a[172:175], v143, s[20:23], 0 offen offset:1024// 000000003B10: E05C1400 8085AC8F
	v_mfma_f32_16x16x16_bf16 v[128:131], a[218:219], v[122:123], v[128:131]// 000000003B18: D3E10080 0E02F5DA
	v_mfma_f32_16x16x16_bf16 v[128:131], a[220:221], v[124:125], v[128:131]// 000000003B20: D3E10080 0E02F9DC
	v_mfma_f32_16x16x16_bf16 v[128:131], a[222:223], v[126:127], v[128:131]// 000000003B28: D3E10080 0E02FDDE
	v_mfma_f32_16x16x16_bf16 v[132:135], a[224:225], v[96:97], v[132:135]// 000000003B30: D3E10084 0E12C1E0
	buffer_load_dwordx4 a[176:179], v144, s[20:23], 0 offen offset:1024// 000000003B38: E05C1400 8085B090
	v_mfma_f32_16x16x16_bf16 v[132:135], a[226:227], v[98:99], v[132:135]// 000000003B40: D3E10084 0E12C5E2
	v_mfma_f32_16x16x16_bf16 v[132:135], a[228:229], v[100:101], v[132:135]// 000000003B48: D3E10084 0E12C9E4
	v_mfma_f32_16x16x16_bf16 v[132:135], a[230:231], v[102:103], v[132:135]// 000000003B50: D3E10084 0E12CDE6
	v_mfma_f32_16x16x16_bf16 v[132:135], a[232:233], v[104:105], v[132:135]// 000000003B58: D3E10084 0E12D1E8
	buffer_load_dwordx4 a[180:183], v145, s[20:23], 0 offen offset:1024// 000000003B60: E05C1400 8085B491
	v_mfma_f32_16x16x16_bf16 v[132:135], a[234:235], v[106:107], v[132:135]// 000000003B68: D3E10084 0E12D5EA
	v_mfma_f32_16x16x16_bf16 v[132:135], a[236:237], v[108:109], v[132:135]// 000000003B70: D3E10084 0E12D9EC
	v_mfma_f32_16x16x16_bf16 v[132:135], a[238:239], v[110:111], v[132:135]// 000000003B78: D3E10084 0E12DDEE
	v_mfma_f32_16x16x16_bf16 v[132:135], a[240:241], v[112:113], v[132:135]// 000000003B80: D3E10084 0E12E1F0
	buffer_load_dwordx4 a[184:187], v146, s[20:23], 0 offen offset:1024// 000000003B88: E05C1400 8085B892
	v_mfma_f32_16x16x16_bf16 v[132:135], a[242:243], v[114:115], v[132:135]// 000000003B90: D3E10084 0E12E5F2
	v_mfma_f32_16x16x16_bf16 v[132:135], a[244:245], v[116:117], v[132:135]// 000000003B98: D3E10084 0E12E9F4
	v_mfma_f32_16x16x16_bf16 v[132:135], a[246:247], v[118:119], v[132:135]// 000000003BA0: D3E10084 0E12EDF6
	v_mfma_f32_16x16x16_bf16 v[132:135], a[248:249], v[120:121], v[132:135]// 000000003BA8: D3E10084 0E12F1F8
	buffer_load_dwordx4 a[188:191], v147, s[20:23], 0 offen offset:1024// 000000003BB0: E05C1400 8085BC93
	v_mfma_f32_16x16x16_bf16 v[132:135], a[250:251], v[122:123], v[132:135]// 000000003BB8: D3E10084 0E12F5FA
	v_mfma_f32_16x16x16_bf16 v[132:135], a[252:253], v[124:125], v[132:135]// 000000003BC0: D3E10084 0E12F9FC
	v_mfma_f32_16x16x16_bf16 v[132:135], a[254:255], v[126:127], v[132:135]// 000000003BC8: D3E10084 0E12FDFE
	s_lshr_b32 s60, s52, 4                                     // 000000003BD0: 8F3C8434
	s_add_u32 s60, 48, s60                                     // 000000003BD4: 803C3CB0
	s_cmp_ge_u32 s60, s55                                      // 000000003BD8: BF09373C
	s_cselect_b32 s56, 0, s56                                  // 000000003BDC: 85383880
	v_mul_u32_u24_dpp v38, v17, v51 row_newbcast:0 row_mask:0xf bank_mask:0xf// 000000003BE0: 104C66FA FF015011
	v_mul_u32_u24_dpp v39, v17, v51 row_newbcast:4 row_mask:0xf bank_mask:0xf// 000000003BE8: 104E66FA FF015411
	v_mul_u32_u24_dpp v40, v17, v51 row_newbcast:8 row_mask:0xf bank_mask:0xf// 000000003BF0: 105066FA FF015811
	v_mul_u32_u24_dpp v41, v17, v51 row_newbcast:12 row_mask:0xf bank_mask:0xf// 000000003BF8: 105266FA FF015C11
	v_add_u32_e32 v26, v38, v6                                 // 000000003C00: 68340D26
	v_add_u32_e32 v27, v39, v6                                 // 000000003C04: 68360D27
	v_add_u32_e32 v28, v40, v6                                 // 000000003C08: 68380D28
	v_add_u32_e32 v29, v41, v6                                 // 000000003C0C: 683A0D29
	v_mul_u32_u24_dpp v38, v17, v51 row_newbcast:1 row_mask:0xf bank_mask:0xf// 000000003C10: 104C66FA FF015111
	v_mul_u32_u24_dpp v39, v17, v51 row_newbcast:2 row_mask:0xf bank_mask:0xf// 000000003C18: 104E66FA FF015211
	v_mul_u32_u24_dpp v40, v17, v51 row_newbcast:5 row_mask:0xf bank_mask:0xf// 000000003C20: 105066FA FF015511
	v_mul_u32_u24_dpp v41, v17, v51 row_newbcast:6 row_mask:0xf bank_mask:0xf// 000000003C28: 105266FA FF015611
	v_add_u32_e32 v148, v38, v7                                // 000000003C30: 69280F26
	v_add_u32_e32 v149, v39, v7                                // 000000003C34: 692A0F27
	v_add_u32_e32 v150, v40, v7                                // 000000003C38: 692C0F28
	v_add_u32_e32 v151, v41, v7                                // 000000003C3C: 692E0F29
	v_mul_u32_u24_dpp v38, v17, v51 row_newbcast:9 row_mask:0xf bank_mask:0xf// 000000003C40: 104C66FA FF015911
	v_mul_u32_u24_dpp v39, v17, v51 row_newbcast:10 row_mask:0xf bank_mask:0xf// 000000003C48: 104E66FA FF015A11
	v_mul_u32_u24_dpp v40, v17, v51 row_newbcast:13 row_mask:0xf bank_mask:0xf// 000000003C50: 105066FA FF015D11
	v_mul_u32_u24_dpp v41, v17, v51 row_newbcast:14 row_mask:0xf bank_mask:0xf// 000000003C58: 105266FA FF015E11
	v_add_u32_e32 v152, v38, v7                                // 000000003C60: 69300F26
	v_add_u32_e32 v153, v39, v7                                // 000000003C64: 69320F27
	v_add_u32_e32 v154, v40, v7                                // 000000003C68: 69340F28
	v_add_u32_e32 v155, v41, v7                                // 000000003C6C: 69360F29
	v_add_u32_e32 v1, s56, v1                                  // 000000003C70: 68020238
	s_addk_i32 s52, 0x100                                      // 000000003C74: B7340100
	s_cmp_lt_i32 s52, s53                                      // 000000003C78: BF043534
	s_cbranch_scc0 label_0578                                  // 000000003C7C: BF84FC51
	s_branch label_057B                                        // 000000003C80: BF82FC53

0000000000003c84 <label_0968>:
	s_lshr_b32 s60, s53, 4                                     // 000000003C84: 8F3C8435
	s_cmp_eq_i32 s60, s55                                      // 000000003C88: BF00373C
	s_cbranch_scc1 label_0EF2                                  // 000000003C8C: BF850536
	s_and_b32 s60, s54, 0xff                                   // 000000003C90: 863CFF36 000000FF
	s_cmp_le_i32 s60, 64                                       // 000000003C98: BF05C03C
	s_cbranch_scc0 label_0AFE                                  // 000000003C9C: BF84017E
	s_lshr_b32 s60, s53, 8                                     // 000000003CA0: 8F3C8835
	s_and_b32 s60, s60, 1                                      // 000000003CA4: 863C813C
	s_cmp_eq_i32 s60, 1                                        // 000000003CA8: BF00813C
	s_cbranch_scc1 label_0A38                                  // 000000003CAC: BF8500BD
	s_waitcnt vmcnt(16) lgkmcnt(0)                             // 000000003CB0: BF8C4070
	v_mfma_f32_16x16x16_bf16 v[96:99], a[0:1], v[80:81], 0     // 000000003CB4: D3E10060 0A02A100
	v_mfma_f32_16x16x16_bf16 v[96:99], a[2:3], v[82:83], v[96:99]// 000000003CBC: D3E10060 0D82A502
	v_mfma_f32_16x16x16_bf16 v[96:99], a[4:5], v[84:85], v[96:99]// 000000003CC4: D3E10060 0D82A904
	v_mfma_f32_16x16x16_bf16 v[96:99], a[6:7], v[86:87], v[96:99]// 000000003CCC: D3E10060 0D82AD06
	v_mfma_f32_16x16x16_bf16 v[96:99], a[8:9], v[88:89], v[96:99]// 000000003CD4: D3E10060 0D82B108
	v_mfma_f32_16x16x16_bf16 v[96:99], a[10:11], v[90:91], v[96:99]// 000000003CDC: D3E10060 0D82B50A
	v_mfma_f32_16x16x16_bf16 v[96:99], a[12:13], v[92:93], v[96:99]// 000000003CE4: D3E10060 0D82B90C
	v_mfma_f32_16x16x16_bf16 v[96:99], a[14:15], v[94:95], v[96:99]// 000000003CEC: D3E10060 0D82BD0E
	s_and_b32 s60, s54, 0xff                                   // 000000003CF4: 863CFF36 000000FF
	v_mov_b32_e32 v53, s60                                     // 000000003CFC: 7E6A023C
	v_lshrrev_b32_e32 v30, 4, v0                               // 000000003D00: 203C0084
	v_mul_i32_i24_e32 v30, 4, v30                              // 000000003D04: 0C3C3C84
	s_mul_i32 s60, s7, 16                                      // 000000003D08: 923C9007
	v_add_u32_e32 v30, s60, v30                                // 000000003D0C: 683C3C3C
	v_add_u32_e32 v31, 1, v30                                  // 000000003D10: 683E3C81
	v_add_u32_e32 v32, 2, v30                                  // 000000003D14: 68403C82
	v_add_u32_e32 v33, 3, v30                                  // 000000003D18: 68423C83
	v_and_b32_e32 v38, v52, v9                                 // 000000003D1C: 264C1334
	v_cmp_lt_u32_e64 s[40:41], v30, v53                        // 000000003D20: D0C90028 00026B1E
	v_add_u32_e32 v30, 64, v30                                 // 000000003D28: 683C3CC0
	s_nop 0                                                    // 000000003D2C: BF800000
	v_cndmask_b32_e64 v96, v38, v96, s[40:41]                  // 000000003D30: D1000060 00A2C126
	v_cmp_lt_u32_e64 s[40:41], v31, v53                        // 000000003D38: D0C90028 00026B1F
	v_add_u32_e32 v31, 64, v31                                 // 000000003D40: 683E3EC0
	s_nop 0                                                    // 000000003D44: BF800000
	v_cndmask_b32_e64 v97, v38, v97, s[40:41]                  // 000000003D48: D1000061 00A2C326
	v_cmp_lt_u32_e64 s[40:41], v32, v53                        // 000000003D50: D0C90028 00026B20
	v_add_u32_e32 v32, 64, v32                                 // 000000003D58: 684040C0
	s_nop 0                                                    // 000000003D5C: BF800000
	v_cndmask_b32_e64 v98, v38, v98, s[40:41]                  // 000000003D60: D1000062 00A2C526
	v_cmp_lt_u32_e64 s[40:41], v33, v53                        // 000000003D68: D0C90028 00026B21
	v_add_u32_e32 v33, 64, v33                                 // 000000003D70: 684242C0
	s_nop 0                                                    // 000000003D74: BF800000
	v_cndmask_b32_e64 v99, v38, v99, s[40:41]                  // 000000003D78: D1000063 00A2C726
	s_nop 1                                                    // 000000003D80: BF800001
	v_or_b32_dpp v96, v98, v96 row_shr:8 row_mask:0xf bank_mask:0xf bound_ctrl:1// 000000003D84: 28C0C0FA FF091862
	v_or_b32_dpp v97, v99, v97 row_shr:8 row_mask:0xf bank_mask:0xf bound_ctrl:1// 000000003D8C: 28C2C2FA FF091863
	v_max_f32_e32 v48, v96, v97                                // 000000003D94: 1660C360
	ds_write_b32 v11, v48 offset:4224                          // 000000003D98: D81A1080 0000300B
	s_waitcnt lgkmcnt(0)                                       // 000000003DA0: BF8CC07F
	s_barrier                                                  // 000000003DA4: BF8A0000
	ds_read_b32 v64, v10 offset:4224                           // 000000003DA8: D86C1080 4000000A
	ds_read_b32 v65, v10 offset:4288                           // 000000003DB0: D86C10C0 4100000A
	ds_read_b32 v66, v10 offset:4352                           // 000000003DB8: D86C1100 4200000A
	ds_read_b32 v67, v10 offset:4416                           // 000000003DC0: D86C1140 4300000A
	ds_read_b32 v68, v10 offset:4480                           // 000000003DC8: D86C1180 4400000A
	ds_read_b32 v69, v10 offset:4544                           // 000000003DD0: D86C11C0 4500000A
	ds_read_b32 v70, v10 offset:4608                           // 000000003DD8: D86C1200 4600000A
	ds_read_b32 v71, v10 offset:4672                           // 000000003DE0: D86C1240 4700000A
	ds_read_b32 v72, v10 offset:4736                           // 000000003DE8: D86C1280 4800000A
	ds_read_b32 v73, v10 offset:4800                           // 000000003DF0: D86C12C0 4900000A
	ds_read_b32 v74, v10 offset:4864                           // 000000003DF8: D86C1300 4A00000A
	ds_read_b32 v75, v10 offset:4928                           // 000000003E00: D86C1340 4B00000A
	ds_read_b32 v76, v10 offset:4992                           // 000000003E08: D86C1380 4C00000A
	ds_read_b32 v77, v10 offset:5056                           // 000000003E10: D86C13C0 4D00000A
	ds_read_b32 v78, v10 offset:5120                           // 000000003E18: D86C1400 4E00000A
	ds_read_b32 v79, v10 offset:5184                           // 000000003E20: D86C1440 4F00000A
	s_waitcnt lgkmcnt(0)                                       // 000000003E28: BF8CC07F
	v_max3_f32 v48, v64, v65, v48                              // 000000003E2C: D1D30030 04C28340
	v_max3_f32 v48, v66, v67, v48                              // 000000003E34: D1D30030 04C28742
	v_max3_f32 v48, v68, v69, v48                              // 000000003E3C: D1D30030 04C28B44
	v_max3_f32 v48, v70, v71, v48                              // 000000003E44: D1D30030 04C28F46
	v_max3_f32 v48, v72, v73, v48                              // 000000003E4C: D1D30030 04C29348
	v_max3_f32 v48, v74, v75, v48                              // 000000003E54: D1D30030 04C2974A
	v_max3_f32 v48, v76, v77, v48                              // 000000003E5C: D1D30030 04C29B4C
	v_max3_f32 v48, v78, v79, v48                              // 000000003E64: D1D30030 04C29F4E
	s_nop 1                                                    // 000000003E6C: BF800001
	v_mov_b32_dpp v38, v48 row_ror:8 row_mask:0xf bank_mask:0xf// 000000003E70: 7E4C02FA FF012830
	v_max_f32_e32 v48, v48, v38                                // 000000003E78: 16604D30
	v_max_f32_e32 v15, v48, v14                                // 000000003E7C: 161E1D30
	v_sub_f32_e32 v49, v14, v15                                // 000000003E80: 04621F0E
	v_mov_b32_e32 v14, v15                                     // 000000003E84: 7E1C030F
	v_mul_f32_e32 v50, s64, v15                                // 000000003E88: 0A641E40
	v_mul_f32_e32 v49, s64, v49                                // 000000003E8C: 0A626240
	v_exp_f32_e32 v49, v49                                     // 000000003E90: 7E624131
	v_fma_f32 v96, v96, s64, -v50                              // 000000003E94: D1CB0060 84C88160
	v_fma_f32 v97, v97, s64, -v50                              // 000000003E9C: D1CB0061 84C88161
	v_exp_f32_e32 v96, v96                                     // 000000003EA4: 7EC04160
	v_exp_f32_e32 v97, v97                                     // 000000003EA8: 7EC24161
	v_mul_f32_e32 v42, v49, v42                                // 000000003EAC: 0A545531
	v_mov_b32_e32 v43, v96                                     // 000000003EB0: 7E560360
	v_add_f32_e32 v43, v97, v43                                // 000000003EB4: 02565761
	v_add_f32_e32 v42, v43, v42                                // 000000003EB8: 0254552B
	v_add_u32_e32 v96, 0x8000, v96                             // 000000003EBC: 68C0C0FF 00008000
	v_add_u32_e32 v97, 0x8000, v97                             // 000000003EC4: 68C2C2FF 00008000
	v_perm_b32 v96, v97, v96, s70                              // 000000003ECC: D1ED0060 011AC161
	ds_write_b64 v13, v[96:97] offset:5248                     // 000000003ED4: D89A1480 0000600D
	s_waitcnt lgkmcnt(0)                                       // 000000003EDC: BF8CC07F
	s_barrier                                                  // 000000003EE0: BF8A0000
	ds_read_b64 v[96:97], v12 offset:5248                      // 000000003EE4: D8EC1480 6000000C
	ds_read_b64 v[98:99], v12 offset:5376                      // 000000003EEC: D8EC1500 6200000C
	ds_read_b64 v[100:101], v12 offset:6272                    // 000000003EF4: D8EC1880 6400000C
	ds_read_b64 v[102:103], v12 offset:6400                    // 000000003EFC: D8EC1900 6600000C
	s_waitcnt lgkmcnt(0)                                       // 000000003F04: BF8CC07F
	v_mov_b32_dpp v97, v96 row_shl:8 row_mask:0xf bank_mask:0xf bound_ctrl:1// 000000003F08: 7EC202FA FF090860
	v_and_b32_e32 v96, v96, v9                                 // 000000003F10: 26C01360
	v_mov_b32_dpp v99, v98 row_shl:8 row_mask:0xf bank_mask:0xf bound_ctrl:1// 000000003F14: 7EC602FA FF090862
	v_and_b32_e32 v98, v98, v9                                 // 000000003F1C: 26C41362
	v_mov_b32_dpp v101, v100 row_shl:8 row_mask:0xf bank_mask:0xf bound_ctrl:1// 000000003F20: 7ECA02FA FF090864
	v_and_b32_e32 v100, v100, v9                               // 000000003F28: 26C81364
	v_mov_b32_dpp v103, v102 row_shl:8 row_mask:0xf bank_mask:0xf bound_ctrl:1// 000000003F2C: 7ECE02FA FF090866
	v_and_b32_e32 v102, v102, v9                               // 000000003F34: 26CC1366
	v_mul_f32_e32 v128, v49, v128                              // 000000003F38: 0B010131
	v_mul_f32_e32 v129, v49, v129                              // 000000003F3C: 0B030331
	v_mul_f32_e32 v130, v49, v130                              // 000000003F40: 0B050531
	v_mul_f32_e32 v131, v49, v131                              // 000000003F44: 0B070731
	v_mul_f32_e32 v132, v49, v132                              // 000000003F48: 0B090931
	v_mul_f32_e32 v133, v49, v133                              // 000000003F4C: 0B0B0B31
	v_mul_f32_e32 v134, v49, v134                              // 000000003F50: 0B0D0D31
	v_mul_f32_e32 v135, v49, v135                              // 000000003F54: 0B0F0F31
	s_waitcnt vmcnt(0)                                         // 000000003F58: BF8C0F70
	v_mfma_f32_16x16x16_bf16 v[128:131], a[128:129], v[96:97], v[128:131]// 000000003F5C: D3E10080 0E02C180
	v_mfma_f32_16x16x16_bf16 v[128:131], a[130:131], v[98:99], v[128:131]// 000000003F64: D3E10080 0E02C582
	v_mfma_f32_16x16x16_bf16 v[128:131], a[132:133], v[100:101], v[128:131]// 000000003F6C: D3E10080 0E02C984
	v_mfma_f32_16x16x16_bf16 v[128:131], a[134:135], v[102:103], v[128:131]// 000000003F74: D3E10080 0E02CD86
	v_mfma_f32_16x16x16_bf16 v[132:135], a[160:161], v[96:97], v[132:135]// 000000003F7C: D3E10084 0E12C1A0
	v_mfma_f32_16x16x16_bf16 v[132:135], a[162:163], v[98:99], v[132:135]// 000000003F84: D3E10084 0E12C5A2
	v_mfma_f32_16x16x16_bf16 v[132:135], a[164:165], v[100:101], v[132:135]// 000000003F8C: D3E10084 0E12C9A4
	v_mfma_f32_16x16x16_bf16 v[132:135], a[166:167], v[102:103], v[132:135]// 000000003F94: D3E10084 0E12CDA6
	s_nop 8                                                    // 000000003F9C: BF800008
	s_branch label_0EF2                                        // 000000003FA0: BF820471

0000000000003fa4 <label_0A38>:
	s_waitcnt vmcnt(16) lgkmcnt(0)                             // 000000003FA4: BF8C4070
	v_mfma_f32_16x16x16_bf16 v[96:99], a[64:65], v[80:81], 0   // 000000003FA8: D3E10060 0A02A140
	v_mfma_f32_16x16x16_bf16 v[96:99], a[66:67], v[82:83], v[96:99]// 000000003FB0: D3E10060 0D82A542
	v_mfma_f32_16x16x16_bf16 v[96:99], a[68:69], v[84:85], v[96:99]// 000000003FB8: D3E10060 0D82A944
	v_mfma_f32_16x16x16_bf16 v[96:99], a[70:71], v[86:87], v[96:99]// 000000003FC0: D3E10060 0D82AD46
	v_mfma_f32_16x16x16_bf16 v[96:99], a[72:73], v[88:89], v[96:99]// 000000003FC8: D3E10060 0D82B148
	v_mfma_f32_16x16x16_bf16 v[96:99], a[74:75], v[90:91], v[96:99]// 000000003FD0: D3E10060 0D82B54A
	v_mfma_f32_16x16x16_bf16 v[96:99], a[76:77], v[92:93], v[96:99]// 000000003FD8: D3E10060 0D82B94C
	v_mfma_f32_16x16x16_bf16 v[96:99], a[78:79], v[94:95], v[96:99]// 000000003FE0: D3E10060 0D82BD4E
	s_and_b32 s60, s54, 0xff                                   // 000000003FE8: 863CFF36 000000FF
	v_mov_b32_e32 v53, s60                                     // 000000003FF0: 7E6A023C
	v_lshrrev_b32_e32 v30, 4, v0                               // 000000003FF4: 203C0084
	v_mul_i32_i24_e32 v30, 4, v30                              // 000000003FF8: 0C3C3C84
	s_mul_i32 s60, s7, 16                                      // 000000003FFC: 923C9007
	v_add_u32_e32 v30, s60, v30                                // 000000004000: 683C3C3C
	v_add_u32_e32 v31, 1, v30                                  // 000000004004: 683E3C81
	v_add_u32_e32 v32, 2, v30                                  // 000000004008: 68403C82
	v_add_u32_e32 v33, 3, v30                                  // 00000000400C: 68423C83
	v_and_b32_e32 v38, v52, v9                                 // 000000004010: 264C1334
	v_cmp_lt_u32_e64 s[40:41], v30, v53                        // 000000004014: D0C90028 00026B1E
	v_add_u32_e32 v30, 64, v30                                 // 00000000401C: 683C3CC0
	s_nop 0                                                    // 000000004020: BF800000
	v_cndmask_b32_e64 v96, v38, v96, s[40:41]                  // 000000004024: D1000060 00A2C126
	v_cmp_lt_u32_e64 s[40:41], v31, v53                        // 00000000402C: D0C90028 00026B1F
	v_add_u32_e32 v31, 64, v31                                 // 000000004034: 683E3EC0
	s_nop 0                                                    // 000000004038: BF800000
	v_cndmask_b32_e64 v97, v38, v97, s[40:41]                  // 00000000403C: D1000061 00A2C326
	v_cmp_lt_u32_e64 s[40:41], v32, v53                        // 000000004044: D0C90028 00026B20
	v_add_u32_e32 v32, 64, v32                                 // 00000000404C: 684040C0
	s_nop 0                                                    // 000000004050: BF800000
	v_cndmask_b32_e64 v98, v38, v98, s[40:41]                  // 000000004054: D1000062 00A2C526
	v_cmp_lt_u32_e64 s[40:41], v33, v53                        // 00000000405C: D0C90028 00026B21
	v_add_u32_e32 v33, 64, v33                                 // 000000004064: 684242C0
	s_nop 0                                                    // 000000004068: BF800000
	v_cndmask_b32_e64 v99, v38, v99, s[40:41]                  // 00000000406C: D1000063 00A2C726
	s_nop 1                                                    // 000000004074: BF800001
	v_or_b32_dpp v96, v98, v96 row_shr:8 row_mask:0xf bank_mask:0xf bound_ctrl:1// 000000004078: 28C0C0FA FF091862
	v_or_b32_dpp v97, v99, v97 row_shr:8 row_mask:0xf bank_mask:0xf bound_ctrl:1// 000000004080: 28C2C2FA FF091863
	v_max_f32_e32 v48, v96, v97                                // 000000004088: 1660C360
	ds_write_b32 v11, v48 offset:4224                          // 00000000408C: D81A1080 0000300B
	s_waitcnt lgkmcnt(0)                                       // 000000004094: BF8CC07F
	s_barrier                                                  // 000000004098: BF8A0000
	ds_read_b32 v64, v10 offset:4224                           // 00000000409C: D86C1080 4000000A
	ds_read_b32 v65, v10 offset:4288                           // 0000000040A4: D86C10C0 4100000A
	ds_read_b32 v66, v10 offset:4352                           // 0000000040AC: D86C1100 4200000A
	ds_read_b32 v67, v10 offset:4416                           // 0000000040B4: D86C1140 4300000A
	ds_read_b32 v68, v10 offset:4480                           // 0000000040BC: D86C1180 4400000A
	ds_read_b32 v69, v10 offset:4544                           // 0000000040C4: D86C11C0 4500000A
	ds_read_b32 v70, v10 offset:4608                           // 0000000040CC: D86C1200 4600000A
	ds_read_b32 v71, v10 offset:4672                           // 0000000040D4: D86C1240 4700000A
	ds_read_b32 v72, v10 offset:4736                           // 0000000040DC: D86C1280 4800000A
	ds_read_b32 v73, v10 offset:4800                           // 0000000040E4: D86C12C0 4900000A
	ds_read_b32 v74, v10 offset:4864                           // 0000000040EC: D86C1300 4A00000A
	ds_read_b32 v75, v10 offset:4928                           // 0000000040F4: D86C1340 4B00000A
	ds_read_b32 v76, v10 offset:4992                           // 0000000040FC: D86C1380 4C00000A
	ds_read_b32 v77, v10 offset:5056                           // 000000004104: D86C13C0 4D00000A
	ds_read_b32 v78, v10 offset:5120                           // 00000000410C: D86C1400 4E00000A
	ds_read_b32 v79, v10 offset:5184                           // 000000004114: D86C1440 4F00000A
	s_waitcnt lgkmcnt(0)                                       // 00000000411C: BF8CC07F
	v_max3_f32 v48, v64, v65, v48                              // 000000004120: D1D30030 04C28340
	v_max3_f32 v48, v66, v67, v48                              // 000000004128: D1D30030 04C28742
	v_max3_f32 v48, v68, v69, v48                              // 000000004130: D1D30030 04C28B44
	v_max3_f32 v48, v70, v71, v48                              // 000000004138: D1D30030 04C28F46
	v_max3_f32 v48, v72, v73, v48                              // 000000004140: D1D30030 04C29348
	v_max3_f32 v48, v74, v75, v48                              // 000000004148: D1D30030 04C2974A
	v_max3_f32 v48, v76, v77, v48                              // 000000004150: D1D30030 04C29B4C
	v_max3_f32 v48, v78, v79, v48                              // 000000004158: D1D30030 04C29F4E
	s_nop 1                                                    // 000000004160: BF800001
	v_mov_b32_dpp v38, v48 row_ror:8 row_mask:0xf bank_mask:0xf// 000000004164: 7E4C02FA FF012830
	v_max_f32_e32 v48, v48, v38                                // 00000000416C: 16604D30
	v_max_f32_e32 v15, v48, v14                                // 000000004170: 161E1D30
	v_sub_f32_e32 v49, v14, v15                                // 000000004174: 04621F0E
	v_mov_b32_e32 v14, v15                                     // 000000004178: 7E1C030F
	v_mul_f32_e32 v50, s64, v15                                // 00000000417C: 0A641E40
	v_mul_f32_e32 v49, s64, v49                                // 000000004180: 0A626240
	v_exp_f32_e32 v49, v49                                     // 000000004184: 7E624131
	v_fma_f32 v96, v96, s64, -v50                              // 000000004188: D1CB0060 84C88160
	v_fma_f32 v97, v97, s64, -v50                              // 000000004190: D1CB0061 84C88161
	v_exp_f32_e32 v96, v96                                     // 000000004198: 7EC04160
	v_exp_f32_e32 v97, v97                                     // 00000000419C: 7EC24161
	v_mul_f32_e32 v42, v49, v42                                // 0000000041A0: 0A545531
	v_mov_b32_e32 v43, v96                                     // 0000000041A4: 7E560360
	v_add_f32_e32 v43, v97, v43                                // 0000000041A8: 02565761
	v_add_f32_e32 v42, v43, v42                                // 0000000041AC: 0254552B
	v_add_u32_e32 v96, 0x8000, v96                             // 0000000041B0: 68C0C0FF 00008000
	v_add_u32_e32 v97, 0x8000, v97                             // 0000000041B8: 68C2C2FF 00008000
	v_perm_b32 v96, v97, v96, s70                              // 0000000041C0: D1ED0060 011AC161
	ds_write_b64 v13, v[96:97] offset:5248                     // 0000000041C8: D89A1480 0000600D
	s_waitcnt lgkmcnt(0)                                       // 0000000041D0: BF8CC07F
	s_barrier                                                  // 0000000041D4: BF8A0000
	ds_read_b64 v[96:97], v12 offset:5248                      // 0000000041D8: D8EC1480 6000000C
	ds_read_b64 v[98:99], v12 offset:5376                      // 0000000041E0: D8EC1500 6200000C
	ds_read_b64 v[100:101], v12 offset:6272                    // 0000000041E8: D8EC1880 6400000C
	ds_read_b64 v[102:103], v12 offset:6400                    // 0000000041F0: D8EC1900 6600000C
	s_waitcnt lgkmcnt(0)                                       // 0000000041F8: BF8CC07F
	v_mov_b32_dpp v97, v96 row_shl:8 row_mask:0xf bank_mask:0xf bound_ctrl:1// 0000000041FC: 7EC202FA FF090860
	v_and_b32_e32 v96, v96, v9                                 // 000000004204: 26C01360
	v_mov_b32_dpp v99, v98 row_shl:8 row_mask:0xf bank_mask:0xf bound_ctrl:1// 000000004208: 7EC602FA FF090862
	v_and_b32_e32 v98, v98, v9                                 // 000000004210: 26C41362
	v_mov_b32_dpp v101, v100 row_shl:8 row_mask:0xf bank_mask:0xf bound_ctrl:1// 000000004214: 7ECA02FA FF090864
	v_and_b32_e32 v100, v100, v9                               // 00000000421C: 26C81364
	v_mov_b32_dpp v103, v102 row_shl:8 row_mask:0xf bank_mask:0xf bound_ctrl:1// 000000004220: 7ECE02FA FF090866
	v_and_b32_e32 v102, v102, v9                               // 000000004228: 26CC1366
	v_mul_f32_e32 v128, v49, v128                              // 00000000422C: 0B010131
	v_mul_f32_e32 v129, v49, v129                              // 000000004230: 0B030331
	v_mul_f32_e32 v130, v49, v130                              // 000000004234: 0B050531
	v_mul_f32_e32 v131, v49, v131                              // 000000004238: 0B070731
	v_mul_f32_e32 v132, v49, v132                              // 00000000423C: 0B090931
	v_mul_f32_e32 v133, v49, v133                              // 000000004240: 0B0B0B31
	v_mul_f32_e32 v134, v49, v134                              // 000000004244: 0B0D0D31
	v_mul_f32_e32 v135, v49, v135                              // 000000004248: 0B0F0F31
	s_waitcnt vmcnt(0)                                         // 00000000424C: BF8C0F70
	v_mfma_f32_16x16x16_bf16 v[128:131], a[192:193], v[96:97], v[128:131]// 000000004250: D3E10080 0E02C1C0
	v_mfma_f32_16x16x16_bf16 v[128:131], a[194:195], v[98:99], v[128:131]// 000000004258: D3E10080 0E02C5C2
	v_mfma_f32_16x16x16_bf16 v[128:131], a[196:197], v[100:101], v[128:131]// 000000004260: D3E10080 0E02C9C4
	v_mfma_f32_16x16x16_bf16 v[128:131], a[198:199], v[102:103], v[128:131]// 000000004268: D3E10080 0E02CDC6
	v_mfma_f32_16x16x16_bf16 v[132:135], a[224:225], v[96:97], v[132:135]// 000000004270: D3E10084 0E12C1E0
	v_mfma_f32_16x16x16_bf16 v[132:135], a[226:227], v[98:99], v[132:135]// 000000004278: D3E10084 0E12C5E2
	v_mfma_f32_16x16x16_bf16 v[132:135], a[228:229], v[100:101], v[132:135]// 000000004280: D3E10084 0E12C9E4
	v_mfma_f32_16x16x16_bf16 v[132:135], a[230:231], v[102:103], v[132:135]// 000000004288: D3E10084 0E12CDE6
	s_nop 8                                                    // 000000004290: BF800008
	s_branch label_0EF2                                        // 000000004294: BF8203B4

0000000000004298 <label_0AFE>:
	s_lshr_b32 s60, s53, 8                                     // 000000004298: 8F3C8835
	s_and_b32 s60, s60, 1                                      // 00000000429C: 863C813C
	s_cmp_eq_i32 s60, 1                                        // 0000000042A0: BF00813C
	s_cbranch_scc1 label_0CFA                                  // 0000000042A4: BF8501D8
	s_waitcnt vmcnt(16) lgkmcnt(0)                             // 0000000042A8: BF8C4070
	s_barrier                                                  // 0000000042AC: BF8A0000
	v_mfma_f32_16x16x16_bf16 v[96:99], a[0:1], v[80:81], 0     // 0000000042B0: D3E10060 0A02A100
	v_mfma_f32_16x16x16_bf16 v[96:99], a[2:3], v[82:83], v[96:99]// 0000000042B8: D3E10060 0D82A502
	v_mfma_f32_16x16x16_bf16 v[96:99], a[4:5], v[84:85], v[96:99]// 0000000042C0: D3E10060 0D82A904
	v_mfma_f32_16x16x16_bf16 v[96:99], a[6:7], v[86:87], v[96:99]// 0000000042C8: D3E10060 0D82AD06
	v_mfma_f32_16x16x16_bf16 v[96:99], a[8:9], v[88:89], v[96:99]// 0000000042D0: D3E10060 0D82B108
	v_mfma_f32_16x16x16_bf16 v[96:99], a[10:11], v[90:91], v[96:99]// 0000000042D8: D3E10060 0D82B50A
	v_mfma_f32_16x16x16_bf16 v[96:99], a[12:13], v[92:93], v[96:99]// 0000000042E0: D3E10060 0D82B90C
	v_mfma_f32_16x16x16_bf16 v[96:99], a[14:15], v[94:95], v[96:99]// 0000000042E8: D3E10060 0D82BD0E
	v_mfma_f32_16x16x16_bf16 v[100:103], a[16:17], v[80:81], 0 // 0000000042F0: D3E10064 0A02A110
	v_mfma_f32_16x16x16_bf16 v[100:103], a[18:19], v[82:83], v[100:103]// 0000000042F8: D3E10064 0D92A512
	v_mfma_f32_16x16x16_bf16 v[100:103], a[20:21], v[84:85], v[100:103]// 000000004300: D3E10064 0D92A914
	v_mfma_f32_16x16x16_bf16 v[100:103], a[22:23], v[86:87], v[100:103]// 000000004308: D3E10064 0D92AD16
	v_mfma_f32_16x16x16_bf16 v[100:103], a[24:25], v[88:89], v[100:103]// 000000004310: D3E10064 0D92B118
	v_mfma_f32_16x16x16_bf16 v[100:103], a[26:27], v[90:91], v[100:103]// 000000004318: D3E10064 0D92B51A
	v_mfma_f32_16x16x16_bf16 v[100:103], a[28:29], v[92:93], v[100:103]// 000000004320: D3E10064 0D92B91C
	v_mfma_f32_16x16x16_bf16 v[100:103], a[30:31], v[94:95], v[100:103]// 000000004328: D3E10064 0D92BD1E
	v_mfma_f32_16x16x16_bf16 v[104:107], a[32:33], v[80:81], 0 // 000000004330: D3E10068 0A02A120
	v_mfma_f32_16x16x16_bf16 v[104:107], a[34:35], v[82:83], v[104:107]// 000000004338: D3E10068 0DA2A522
	v_mfma_f32_16x16x16_bf16 v[104:107], a[36:37], v[84:85], v[104:107]// 000000004340: D3E10068 0DA2A924
	v_mfma_f32_16x16x16_bf16 v[104:107], a[38:39], v[86:87], v[104:107]// 000000004348: D3E10068 0DA2AD26
	v_mfma_f32_16x16x16_bf16 v[104:107], a[40:41], v[88:89], v[104:107]// 000000004350: D3E10068 0DA2B128
	v_mfma_f32_16x16x16_bf16 v[104:107], a[42:43], v[90:91], v[104:107]// 000000004358: D3E10068 0DA2B52A
	v_mfma_f32_16x16x16_bf16 v[104:107], a[44:45], v[92:93], v[104:107]// 000000004360: D3E10068 0DA2B92C
	v_mfma_f32_16x16x16_bf16 v[104:107], a[46:47], v[94:95], v[104:107]// 000000004368: D3E10068 0DA2BD2E
	v_mfma_f32_16x16x16_bf16 v[108:111], a[48:49], v[80:81], 0 // 000000004370: D3E1006C 0A02A130
	v_mfma_f32_16x16x16_bf16 v[108:111], a[50:51], v[82:83], v[108:111]// 000000004378: D3E1006C 0DB2A532
	v_mfma_f32_16x16x16_bf16 v[108:111], a[52:53], v[84:85], v[108:111]// 000000004380: D3E1006C 0DB2A934
	v_mfma_f32_16x16x16_bf16 v[108:111], a[54:55], v[86:87], v[108:111]// 000000004388: D3E1006C 0DB2AD36
	v_mfma_f32_16x16x16_bf16 v[108:111], a[56:57], v[88:89], v[108:111]// 000000004390: D3E1006C 0DB2B138
	v_mfma_f32_16x16x16_bf16 v[108:111], a[58:59], v[90:91], v[108:111]// 000000004398: D3E1006C 0DB2B53A
	v_mfma_f32_16x16x16_bf16 v[108:111], a[60:61], v[92:93], v[108:111]// 0000000043A0: D3E1006C 0DB2B93C
	v_mfma_f32_16x16x16_bf16 v[108:111], a[62:63], v[94:95], v[108:111]// 0000000043A8: D3E1006C 0DB2BD3E
	s_nop 8                                                    // 0000000043B0: BF800008
	s_and_b32 s60, s54, 0xff                                   // 0000000043B4: 863CFF36 000000FF
	v_mov_b32_e32 v53, s60                                     // 0000000043BC: 7E6A023C
	v_lshrrev_b32_e32 v30, 4, v0                               // 0000000043C0: 203C0084
	v_mul_i32_i24_e32 v30, 4, v30                              // 0000000043C4: 0C3C3C84
	s_mul_i32 s60, s7, 16                                      // 0000000043C8: 923C9007
	v_add_u32_e32 v30, s60, v30                                // 0000000043CC: 683C3C3C
	v_add_u32_e32 v31, 1, v30                                  // 0000000043D0: 683E3C81
	v_add_u32_e32 v32, 2, v30                                  // 0000000043D4: 68403C82
	v_add_u32_e32 v33, 3, v30                                  // 0000000043D8: 68423C83
	v_and_b32_e32 v38, v52, v9                                 // 0000000043DC: 264C1334
	v_cmp_lt_u32_e64 s[40:41], v30, v53                        // 0000000043E0: D0C90028 00026B1E
	v_add_u32_e32 v30, 64, v30                                 // 0000000043E8: 683C3CC0
	s_nop 0                                                    // 0000000043EC: BF800000
	v_cndmask_b32_e64 v96, v38, v96, s[40:41]                  // 0000000043F0: D1000060 00A2C126
	v_cmp_lt_u32_e64 s[40:41], v31, v53                        // 0000000043F8: D0C90028 00026B1F
	v_add_u32_e32 v31, 64, v31                                 // 000000004400: 683E3EC0
	s_nop 0                                                    // 000000004404: BF800000
	v_cndmask_b32_e64 v97, v38, v97, s[40:41]                  // 000000004408: D1000061 00A2C326
	v_cmp_lt_u32_e64 s[40:41], v32, v53                        // 000000004410: D0C90028 00026B20
	v_add_u32_e32 v32, 64, v32                                 // 000000004418: 684040C0
	s_nop 0                                                    // 00000000441C: BF800000
	v_cndmask_b32_e64 v98, v38, v98, s[40:41]                  // 000000004420: D1000062 00A2C526
	v_cmp_lt_u32_e64 s[40:41], v33, v53                        // 000000004428: D0C90028 00026B21
	v_add_u32_e32 v33, 64, v33                                 // 000000004430: 684242C0
	s_nop 0                                                    // 000000004434: BF800000
	v_cndmask_b32_e64 v99, v38, v99, s[40:41]                  // 000000004438: D1000063 00A2C726
	v_cmp_lt_u32_e64 s[40:41], v30, v53                        // 000000004440: D0C90028 00026B1E
	v_add_u32_e32 v30, 64, v30                                 // 000000004448: 683C3CC0
	s_nop 0                                                    // 00000000444C: BF800000
	v_cndmask_b32_e64 v100, v38, v100, s[40:41]                // 000000004450: D1000064 00A2C926
	v_cmp_lt_u32_e64 s[40:41], v31, v53                        // 000000004458: D0C90028 00026B1F
	v_add_u32_e32 v31, 64, v31                                 // 000000004460: 683E3EC0
	s_nop 0                                                    // 000000004464: BF800000
	v_cndmask_b32_e64 v101, v38, v101, s[40:41]                // 000000004468: D1000065 00A2CB26
	v_cmp_lt_u32_e64 s[40:41], v32, v53                        // 000000004470: D0C90028 00026B20
	v_add_u32_e32 v32, 64, v32                                 // 000000004478: 684040C0
	s_nop 0                                                    // 00000000447C: BF800000
	v_cndmask_b32_e64 v102, v38, v102, s[40:41]                // 000000004480: D1000066 00A2CD26
	v_cmp_lt_u32_e64 s[40:41], v33, v53                        // 000000004488: D0C90028 00026B21
	v_add_u32_e32 v33, 64, v33                                 // 000000004490: 684242C0
	s_nop 0                                                    // 000000004494: BF800000
	v_cndmask_b32_e64 v103, v38, v103, s[40:41]                // 000000004498: D1000067 00A2CF26
	v_cmp_lt_u32_e64 s[40:41], v30, v53                        // 0000000044A0: D0C90028 00026B1E
	v_add_u32_e32 v30, 64, v30                                 // 0000000044A8: 683C3CC0
	s_nop 0                                                    // 0000000044AC: BF800000
	v_cndmask_b32_e64 v104, v38, v104, s[40:41]                // 0000000044B0: D1000068 00A2D126
	v_cmp_lt_u32_e64 s[40:41], v31, v53                        // 0000000044B8: D0C90028 00026B1F
	v_add_u32_e32 v31, 64, v31                                 // 0000000044C0: 683E3EC0
	s_nop 0                                                    // 0000000044C4: BF800000
	v_cndmask_b32_e64 v105, v38, v105, s[40:41]                // 0000000044C8: D1000069 00A2D326
	v_cmp_lt_u32_e64 s[40:41], v32, v53                        // 0000000044D0: D0C90028 00026B20
	v_add_u32_e32 v32, 64, v32                                 // 0000000044D8: 684040C0
	s_nop 0                                                    // 0000000044DC: BF800000
	v_cndmask_b32_e64 v106, v38, v106, s[40:41]                // 0000000044E0: D100006A 00A2D526
	v_cmp_lt_u32_e64 s[40:41], v33, v53                        // 0000000044E8: D0C90028 00026B21
	v_add_u32_e32 v33, 64, v33                                 // 0000000044F0: 684242C0
	s_nop 0                                                    // 0000000044F4: BF800000
	v_cndmask_b32_e64 v107, v38, v107, s[40:41]                // 0000000044F8: D100006B 00A2D726
	v_cmp_lt_u32_e64 s[40:41], v30, v53                        // 000000004500: D0C90028 00026B1E
	v_add_u32_e32 v30, 64, v30                                 // 000000004508: 683C3CC0
	s_nop 0                                                    // 00000000450C: BF800000
	v_cndmask_b32_e64 v108, v38, v108, s[40:41]                // 000000004510: D100006C 00A2D926
	v_cmp_lt_u32_e64 s[40:41], v31, v53                        // 000000004518: D0C90028 00026B1F
	v_add_u32_e32 v31, 64, v31                                 // 000000004520: 683E3EC0
	s_nop 0                                                    // 000000004524: BF800000
	v_cndmask_b32_e64 v109, v38, v109, s[40:41]                // 000000004528: D100006D 00A2DB26
	v_cmp_lt_u32_e64 s[40:41], v32, v53                        // 000000004530: D0C90028 00026B20
	v_add_u32_e32 v32, 64, v32                                 // 000000004538: 684040C0
	s_nop 0                                                    // 00000000453C: BF800000
	v_cndmask_b32_e64 v110, v38, v110, s[40:41]                // 000000004540: D100006E 00A2DD26
	v_cmp_lt_u32_e64 s[40:41], v33, v53                        // 000000004548: D0C90028 00026B21
	v_add_u32_e32 v33, 64, v33                                 // 000000004550: 684242C0
	s_nop 0                                                    // 000000004554: BF800000
	v_cndmask_b32_e64 v111, v38, v111, s[40:41]                // 000000004558: D100006F 00A2DF26
	s_nop 8                                                    // 000000004560: BF800008
	v_or_b32_dpp v96, v104, v96 row_shr:8 row_mask:0xf bank_mask:0xf bound_ctrl:1// 000000004564: 28C0C0FA FF091868
	v_or_b32_dpp v97, v105, v97 row_shr:8 row_mask:0xf bank_mask:0xf bound_ctrl:1// 00000000456C: 28C2C2FA FF091869
	v_or_b32_dpp v98, v106, v98 row_shr:8 row_mask:0xf bank_mask:0xf bound_ctrl:1// 000000004574: 28C4C4FA FF09186A
	v_or_b32_dpp v99, v107, v99 row_shr:8 row_mask:0xf bank_mask:0xf bound_ctrl:1// 00000000457C: 28C6C6FA FF09186B
	v_or_b32_dpp v100, v108, v100 row_shr:8 row_mask:0xf bank_mask:0xf bound_ctrl:1// 000000004584: 28C8C8FA FF09186C
	v_or_b32_dpp v101, v109, v101 row_shr:8 row_mask:0xf bank_mask:0xf bound_ctrl:1// 00000000458C: 28CACAFA FF09186D
	v_or_b32_dpp v102, v110, v102 row_shr:8 row_mask:0xf bank_mask:0xf bound_ctrl:1// 000000004594: 28CCCCFA FF09186E
	v_or_b32_dpp v103, v111, v103 row_shr:8 row_mask:0xf bank_mask:0xf bound_ctrl:1// 00000000459C: 28CECEFA FF09186F
	v_mov_b32_e32 v48, v96                                     // 0000000045A4: 7E600360
	v_max3_f32 v48, v96, v97, v48                              // 0000000045A8: D1D30030 04C2C360
	v_max3_f32 v48, v98, v99, v48                              // 0000000045B0: D1D30030 04C2C762
	v_max3_f32 v48, v100, v101, v48                            // 0000000045B8: D1D30030 04C2CB64
	v_max3_f32 v48, v102, v103, v48                            // 0000000045C0: D1D30030 04C2CF66
	ds_write_b32 v11, v48 offset:4224                          // 0000000045C8: D81A1080 0000300B
	s_waitcnt lgkmcnt(0)                                       // 0000000045D0: BF8CC07F
	s_barrier                                                  // 0000000045D4: BF8A0000
	ds_read_b32 v64, v10 offset:4224                           // 0000000045D8: D86C1080 4000000A
	ds_read_b32 v65, v10 offset:4288                           // 0000000045E0: D86C10C0 4100000A
	ds_read_b32 v66, v10 offset:4352                           // 0000000045E8: D86C1100 4200000A
	ds_read_b32 v67, v10 offset:4416                           // 0000000045F0: D86C1140 4300000A
	ds_read_b32 v68, v10 offset:4480                           // 0000000045F8: D86C1180 4400000A
	ds_read_b32 v69, v10 offset:4544                           // 000000004600: D86C11C0 4500000A
	ds_read_b32 v70, v10 offset:4608                           // 000000004608: D86C1200 4600000A
	ds_read_b32 v71, v10 offset:4672                           // 000000004610: D86C1240 4700000A
	ds_read_b32 v72, v10 offset:4736                           // 000000004618: D86C1280 4800000A
	ds_read_b32 v73, v10 offset:4800                           // 000000004620: D86C12C0 4900000A
	ds_read_b32 v74, v10 offset:4864                           // 000000004628: D86C1300 4A00000A
	ds_read_b32 v75, v10 offset:4928                           // 000000004630: D86C1340 4B00000A
	ds_read_b32 v76, v10 offset:4992                           // 000000004638: D86C1380 4C00000A
	ds_read_b32 v77, v10 offset:5056                           // 000000004640: D86C13C0 4D00000A
	ds_read_b32 v78, v10 offset:5120                           // 000000004648: D86C1400 4E00000A
	ds_read_b32 v79, v10 offset:5184                           // 000000004650: D86C1440 4F00000A
	s_waitcnt lgkmcnt(0)                                       // 000000004658: BF8CC07F
	v_max3_f32 v48, v64, v65, v48                              // 00000000465C: D1D30030 04C28340
	v_max3_f32 v48, v66, v67, v48                              // 000000004664: D1D30030 04C28742
	v_max3_f32 v48, v68, v69, v48                              // 00000000466C: D1D30030 04C28B44
	v_max3_f32 v48, v70, v71, v48                              // 000000004674: D1D30030 04C28F46
	v_max3_f32 v48, v72, v73, v48                              // 00000000467C: D1D30030 04C29348
	v_max3_f32 v48, v74, v75, v48                              // 000000004684: D1D30030 04C2974A
	v_max3_f32 v48, v76, v77, v48                              // 00000000468C: D1D30030 04C29B4C
	v_max3_f32 v48, v78, v79, v48                              // 000000004694: D1D30030 04C29F4E
	v_cmp_eq_u32_e64 s[40:41], v52, v14                        // 00000000469C: D0CA0028 00021D34
	s_nop 1                                                    // 0000000046A4: BF800001
	v_mov_b32_dpp v38, v48 row_ror:8 row_mask:0xf bank_mask:0xf// 0000000046A8: 7E4C02FA FF012830
	v_max_f32_e32 v48, v48, v38                                // 0000000046B0: 16604D30
	v_max_f32_e32 v15, v48, v14                                // 0000000046B4: 161E1D30
	v_sub_f32_e32 v49, v14, v15                                // 0000000046B8: 04621F0E
	v_cndmask_b32_e64 v49, v49, 0, s[40:41]                    // 0000000046BC: D1000031 00A10131
	v_mov_b32_e32 v14, v15                                     // 0000000046C4: 7E1C030F
	v_mul_f32_e32 v50, s64, v15                                // 0000000046C8: 0A641E40
	v_mul_f32_e32 v49, s64, v49                                // 0000000046CC: 0A626240
	v_exp_f32_e32 v49, v49                                     // 0000000046D0: 7E624131
	v_fma_f32 v96, v96, s64, -v50                              // 0000000046D4: D1CB0060 84C88160
	v_fma_f32 v97, v97, s64, -v50                              // 0000000046DC: D1CB0061 84C88161
	v_fma_f32 v98, v98, s64, -v50                              // 0000000046E4: D1CB0062 84C88162
	v_fma_f32 v99, v99, s64, -v50                              // 0000000046EC: D1CB0063 84C88163
	v_fma_f32 v100, v100, s64, -v50                            // 0000000046F4: D1CB0064 84C88164
	v_fma_f32 v101, v101, s64, -v50                            // 0000000046FC: D1CB0065 84C88165
	v_fma_f32 v102, v102, s64, -v50                            // 000000004704: D1CB0066 84C88166
	v_fma_f32 v103, v103, s64, -v50                            // 00000000470C: D1CB0067 84C88167
	v_exp_f32_e32 v96, v96                                     // 000000004714: 7EC04160
	v_exp_f32_e32 v97, v97                                     // 000000004718: 7EC24161
	v_exp_f32_e32 v98, v98                                     // 00000000471C: 7EC44162
	v_exp_f32_e32 v99, v99                                     // 000000004720: 7EC64163
	v_exp_f32_e32 v100, v100                                   // 000000004724: 7EC84164
	v_exp_f32_e32 v101, v101                                   // 000000004728: 7ECA4165
	v_exp_f32_e32 v102, v102                                   // 00000000472C: 7ECC4166
	v_exp_f32_e32 v103, v103                                   // 000000004730: 7ECE4167
	v_mul_f32_e32 v42, v49, v42                                // 000000004734: 0A545531
	v_mov_b32_e32 v43, v96                                     // 000000004738: 7E560360
	v_add_f32_e32 v43, v97, v43                                // 00000000473C: 02565761
	v_add_f32_e32 v43, v98, v43                                // 000000004740: 02565762
	v_add_f32_e32 v43, v99, v43                                // 000000004744: 02565763
	v_add_f32_e32 v43, v100, v43                               // 000000004748: 02565764
	v_add_f32_e32 v43, v101, v43                               // 00000000474C: 02565765
	v_add_f32_e32 v43, v102, v43                               // 000000004750: 02565766
	v_add_f32_e32 v43, v103, v43                               // 000000004754: 02565767
	v_add_f32_e32 v42, v43, v42                                // 000000004758: 0254552B
	v_add_u32_e32 v96, 0x8000, v96                             // 00000000475C: 68C0C0FF 00008000
	v_add_u32_e32 v97, 0x8000, v97                             // 000000004764: 68C2C2FF 00008000
	v_perm_b32 v96, v97, v96, s70                              // 00000000476C: D1ED0060 011AC161
	v_add_u32_e32 v98, 0x8000, v98                             // 000000004774: 68C4C4FF 00008000
	v_add_u32_e32 v99, 0x8000, v99                             // 00000000477C: 68C6C6FF 00008000
	v_perm_b32 v97, v99, v98, s70                              // 000000004784: D1ED0061 011AC563
	v_add_u32_e32 v100, 0x8000, v100                           // 00000000478C: 68C8C8FF 00008000
	v_add_u32_e32 v101, 0x8000, v101                           // 000000004794: 68CACAFF 00008000
	v_perm_b32 v98, v101, v100, s70                            // 00000000479C: D1ED0062 011AC965
	v_add_u32_e32 v102, 0x8000, v102                           // 0000000047A4: 68CCCCFF 00008000
	v_add_u32_e32 v103, 0x8000, v103                           // 0000000047AC: 68CECEFF 00008000
	v_perm_b32 v99, v103, v102, s70                            // 0000000047B4: D1ED0063 011ACD67
	ds_write_b64 v13, v[96:97] offset:5248                     // 0000000047BC: D89A1480 0000600D
	ds_write_b64 v13, v[98:99] offset:7296                     // 0000000047C4: D89A1C80 0000620D
	s_waitcnt lgkmcnt(0)                                       // 0000000047CC: BF8CC07F
	s_barrier                                                  // 0000000047D0: BF8A0000
	ds_read_b64 v[96:97], v12 offset:5248                      // 0000000047D4: D8EC1480 6000000C
	ds_read_b64 v[98:99], v12 offset:5376                      // 0000000047DC: D8EC1500 6200000C
	ds_read_b64 v[100:101], v12 offset:6272                    // 0000000047E4: D8EC1880 6400000C
	ds_read_b64 v[102:103], v12 offset:6400                    // 0000000047EC: D8EC1900 6600000C
	ds_read_b64 v[104:105], v12 offset:7296                    // 0000000047F4: D8EC1C80 6800000C
	ds_read_b64 v[106:107], v12 offset:7424                    // 0000000047FC: D8EC1D00 6A00000C
	ds_read_b64 v[108:109], v12 offset:8320                    // 000000004804: D8EC2080 6C00000C
	ds_read_b64 v[110:111], v12 offset:8448                    // 00000000480C: D8EC2100 6E00000C
	s_waitcnt lgkmcnt(0)                                       // 000000004814: BF8CC07F
	v_mov_b32_dpp v112, v96 row_shl:8 row_mask:0xf bank_mask:0xf bound_ctrl:1// 000000004818: 7EE002FA FF090860
	v_and_b32_e32 v96, v96, v9                                 // 000000004820: 26C01360
	v_mov_b32_dpp v113, v97 row_shl:8 row_mask:0xf bank_mask:0xf bound_ctrl:1// 000000004824: 7EE202FA FF090861
	v_and_b32_e32 v97, v97, v9                                 // 00000000482C: 26C21361
	v_mov_b32_dpp v114, v98 row_shl:8 row_mask:0xf bank_mask:0xf bound_ctrl:1// 000000004830: 7EE402FA FF090862
	v_and_b32_e32 v98, v98, v9                                 // 000000004838: 26C41362
	v_mov_b32_dpp v115, v99 row_shl:8 row_mask:0xf bank_mask:0xf bound_ctrl:1// 00000000483C: 7EE602FA FF090863
	v_and_b32_e32 v99, v99, v9                                 // 000000004844: 26C61363
	v_mov_b32_dpp v116, v100 row_shl:8 row_mask:0xf bank_mask:0xf bound_ctrl:1// 000000004848: 7EE802FA FF090864
	v_and_b32_e32 v100, v100, v9                               // 000000004850: 26C81364
	v_mov_b32_dpp v117, v101 row_shl:8 row_mask:0xf bank_mask:0xf bound_ctrl:1// 000000004854: 7EEA02FA FF090865
	v_and_b32_e32 v101, v101, v9                               // 00000000485C: 26CA1365
	v_mov_b32_dpp v118, v102 row_shl:8 row_mask:0xf bank_mask:0xf bound_ctrl:1// 000000004860: 7EEC02FA FF090866
	v_and_b32_e32 v102, v102, v9                               // 000000004868: 26CC1366
	v_mov_b32_dpp v119, v103 row_shl:8 row_mask:0xf bank_mask:0xf bound_ctrl:1// 00000000486C: 7EEE02FA FF090867
	v_and_b32_e32 v103, v103, v9                               // 000000004874: 26CE1367
	v_mov_b32_dpp v120, v104 row_shl:8 row_mask:0xf bank_mask:0xf bound_ctrl:1// 000000004878: 7EF002FA FF090868
	v_and_b32_e32 v104, v104, v9                               // 000000004880: 26D01368
	v_mov_b32_dpp v121, v105 row_shl:8 row_mask:0xf bank_mask:0xf bound_ctrl:1// 000000004884: 7EF202FA FF090869
	v_and_b32_e32 v105, v105, v9                               // 00000000488C: 26D21369
	v_mov_b32_dpp v122, v106 row_shl:8 row_mask:0xf bank_mask:0xf bound_ctrl:1// 000000004890: 7EF402FA FF09086A
	v_and_b32_e32 v106, v106, v9                               // 000000004898: 26D4136A
	v_mov_b32_dpp v123, v107 row_shl:8 row_mask:0xf bank_mask:0xf bound_ctrl:1// 00000000489C: 7EF602FA FF09086B
	v_and_b32_e32 v107, v107, v9                               // 0000000048A4: 26D6136B
	v_mov_b32_dpp v124, v108 row_shl:8 row_mask:0xf bank_mask:0xf bound_ctrl:1// 0000000048A8: 7EF802FA FF09086C
	v_and_b32_e32 v108, v108, v9                               // 0000000048B0: 26D8136C
	v_mov_b32_dpp v125, v109 row_shl:8 row_mask:0xf bank_mask:0xf bound_ctrl:1// 0000000048B4: 7EFA02FA FF09086D
	v_and_b32_e32 v109, v109, v9                               // 0000000048BC: 26DA136D
	v_mov_b32_dpp v126, v110 row_shl:8 row_mask:0xf bank_mask:0xf bound_ctrl:1// 0000000048C0: 7EFC02FA FF09086E
	v_and_b32_e32 v110, v110, v9                               // 0000000048C8: 26DC136E
	v_mov_b32_dpp v127, v111 row_shl:8 row_mask:0xf bank_mask:0xf bound_ctrl:1// 0000000048CC: 7EFE02FA FF09086F
	v_and_b32_e32 v111, v111, v9                               // 0000000048D4: 26DE136F
	v_mul_f32_e32 v128, v49, v128                              // 0000000048D8: 0B010131
	v_mul_f32_e32 v129, v49, v129                              // 0000000048DC: 0B030331
	v_mul_f32_e32 v130, v49, v130                              // 0000000048E0: 0B050531
	v_mul_f32_e32 v131, v49, v131                              // 0000000048E4: 0B070731
	v_mul_f32_e32 v132, v49, v132                              // 0000000048E8: 0B090931
	v_mul_f32_e32 v133, v49, v133                              // 0000000048EC: 0B0B0B31
	v_mul_f32_e32 v134, v49, v134                              // 0000000048F0: 0B0D0D31
	v_mul_f32_e32 v135, v49, v135                              // 0000000048F4: 0B0F0F31
	s_waitcnt vmcnt(0)                                         // 0000000048F8: BF8C0F70
	s_barrier                                                  // 0000000048FC: BF8A0000
	v_mfma_f32_16x16x16_bf16 v[128:131], a[128:129], v[96:97], v[128:131]// 000000004900: D3E10080 0E02C180
	v_mfma_f32_16x16x16_bf16 v[128:131], a[130:131], v[98:99], v[128:131]// 000000004908: D3E10080 0E02C582
	v_mfma_f32_16x16x16_bf16 v[128:131], a[132:133], v[100:101], v[128:131]// 000000004910: D3E10080 0E02C984
	v_mfma_f32_16x16x16_bf16 v[128:131], a[134:135], v[102:103], v[128:131]// 000000004918: D3E10080 0E02CD86
	v_mfma_f32_16x16x16_bf16 v[128:131], a[136:137], v[104:105], v[128:131]// 000000004920: D3E10080 0E02D188
	v_mfma_f32_16x16x16_bf16 v[128:131], a[138:139], v[106:107], v[128:131]// 000000004928: D3E10080 0E02D58A
	v_mfma_f32_16x16x16_bf16 v[128:131], a[140:141], v[108:109], v[128:131]// 000000004930: D3E10080 0E02D98C
	v_mfma_f32_16x16x16_bf16 v[128:131], a[142:143], v[110:111], v[128:131]// 000000004938: D3E10080 0E02DD8E
	v_mfma_f32_16x16x16_bf16 v[128:131], a[144:145], v[112:113], v[128:131]// 000000004940: D3E10080 0E02E190
	v_mfma_f32_16x16x16_bf16 v[128:131], a[146:147], v[114:115], v[128:131]// 000000004948: D3E10080 0E02E592
	v_mfma_f32_16x16x16_bf16 v[128:131], a[148:149], v[116:117], v[128:131]// 000000004950: D3E10080 0E02E994
	v_mfma_f32_16x16x16_bf16 v[128:131], a[150:151], v[118:119], v[128:131]// 000000004958: D3E10080 0E02ED96
	v_mfma_f32_16x16x16_bf16 v[128:131], a[152:153], v[120:121], v[128:131]// 000000004960: D3E10080 0E02F198
	v_mfma_f32_16x16x16_bf16 v[128:131], a[154:155], v[122:123], v[128:131]// 000000004968: D3E10080 0E02F59A
	v_mfma_f32_16x16x16_bf16 v[128:131], a[156:157], v[124:125], v[128:131]// 000000004970: D3E10080 0E02F99C
	v_mfma_f32_16x16x16_bf16 v[128:131], a[158:159], v[126:127], v[128:131]// 000000004978: D3E10080 0E02FD9E
	v_mfma_f32_16x16x16_bf16 v[132:135], a[160:161], v[96:97], v[132:135]// 000000004980: D3E10084 0E12C1A0
	v_mfma_f32_16x16x16_bf16 v[132:135], a[162:163], v[98:99], v[132:135]// 000000004988: D3E10084 0E12C5A2
	v_mfma_f32_16x16x16_bf16 v[132:135], a[164:165], v[100:101], v[132:135]// 000000004990: D3E10084 0E12C9A4
	v_mfma_f32_16x16x16_bf16 v[132:135], a[166:167], v[102:103], v[132:135]// 000000004998: D3E10084 0E12CDA6
	v_mfma_f32_16x16x16_bf16 v[132:135], a[168:169], v[104:105], v[132:135]// 0000000049A0: D3E10084 0E12D1A8
	v_mfma_f32_16x16x16_bf16 v[132:135], a[170:171], v[106:107], v[132:135]// 0000000049A8: D3E10084 0E12D5AA
	v_mfma_f32_16x16x16_bf16 v[132:135], a[172:173], v[108:109], v[132:135]// 0000000049B0: D3E10084 0E12D9AC
	v_mfma_f32_16x16x16_bf16 v[132:135], a[174:175], v[110:111], v[132:135]// 0000000049B8: D3E10084 0E12DDAE
	v_mfma_f32_16x16x16_bf16 v[132:135], a[176:177], v[112:113], v[132:135]// 0000000049C0: D3E10084 0E12E1B0
	v_mfma_f32_16x16x16_bf16 v[132:135], a[178:179], v[114:115], v[132:135]// 0000000049C8: D3E10084 0E12E5B2
	v_mfma_f32_16x16x16_bf16 v[132:135], a[180:181], v[116:117], v[132:135]// 0000000049D0: D3E10084 0E12E9B4
	v_mfma_f32_16x16x16_bf16 v[132:135], a[182:183], v[118:119], v[132:135]// 0000000049D8: D3E10084 0E12EDB6
	v_mfma_f32_16x16x16_bf16 v[132:135], a[184:185], v[120:121], v[132:135]// 0000000049E0: D3E10084 0E12F1B8
	v_mfma_f32_16x16x16_bf16 v[132:135], a[186:187], v[122:123], v[132:135]// 0000000049E8: D3E10084 0E12F5BA
	v_mfma_f32_16x16x16_bf16 v[132:135], a[188:189], v[124:125], v[132:135]// 0000000049F0: D3E10084 0E12F9BC
	v_mfma_f32_16x16x16_bf16 v[132:135], a[190:191], v[126:127], v[132:135]// 0000000049F8: D3E10084 0E12FDBE
	s_nop 8                                                    // 000000004A00: BF800008
	s_branch label_0EF2                                        // 000000004A04: BF8201D8

0000000000004a08 <label_0CFA>:
	s_waitcnt vmcnt(16) lgkmcnt(0)                             // 000000004A08: BF8C4070
	s_barrier                                                  // 000000004A0C: BF8A0000
	v_mfma_f32_16x16x16_bf16 v[96:99], a[64:65], v[80:81], 0   // 000000004A10: D3E10060 0A02A140
	v_mfma_f32_16x16x16_bf16 v[96:99], a[66:67], v[82:83], v[96:99]// 000000004A18: D3E10060 0D82A542
	v_mfma_f32_16x16x16_bf16 v[96:99], a[68:69], v[84:85], v[96:99]// 000000004A20: D3E10060 0D82A944
	v_mfma_f32_16x16x16_bf16 v[96:99], a[70:71], v[86:87], v[96:99]// 000000004A28: D3E10060 0D82AD46
	v_mfma_f32_16x16x16_bf16 v[96:99], a[72:73], v[88:89], v[96:99]// 000000004A30: D3E10060 0D82B148
	v_mfma_f32_16x16x16_bf16 v[96:99], a[74:75], v[90:91], v[96:99]// 000000004A38: D3E10060 0D82B54A
	v_mfma_f32_16x16x16_bf16 v[96:99], a[76:77], v[92:93], v[96:99]// 000000004A40: D3E10060 0D82B94C
	v_mfma_f32_16x16x16_bf16 v[96:99], a[78:79], v[94:95], v[96:99]// 000000004A48: D3E10060 0D82BD4E
	v_mfma_f32_16x16x16_bf16 v[100:103], a[80:81], v[80:81], 0 // 000000004A50: D3E10064 0A02A150
	v_mfma_f32_16x16x16_bf16 v[100:103], a[82:83], v[82:83], v[100:103]// 000000004A58: D3E10064 0D92A552
	v_mfma_f32_16x16x16_bf16 v[100:103], a[84:85], v[84:85], v[100:103]// 000000004A60: D3E10064 0D92A954
	v_mfma_f32_16x16x16_bf16 v[100:103], a[86:87], v[86:87], v[100:103]// 000000004A68: D3E10064 0D92AD56
	v_mfma_f32_16x16x16_bf16 v[100:103], a[88:89], v[88:89], v[100:103]// 000000004A70: D3E10064 0D92B158
	v_mfma_f32_16x16x16_bf16 v[100:103], a[90:91], v[90:91], v[100:103]// 000000004A78: D3E10064 0D92B55A
	v_mfma_f32_16x16x16_bf16 v[100:103], a[92:93], v[92:93], v[100:103]// 000000004A80: D3E10064 0D92B95C
	v_mfma_f32_16x16x16_bf16 v[100:103], a[94:95], v[94:95], v[100:103]// 000000004A88: D3E10064 0D92BD5E
	v_mfma_f32_16x16x16_bf16 v[104:107], a[96:97], v[80:81], 0 // 000000004A90: D3E10068 0A02A160
	v_mfma_f32_16x16x16_bf16 v[104:107], a[98:99], v[82:83], v[104:107]// 000000004A98: D3E10068 0DA2A562
	v_mfma_f32_16x16x16_bf16 v[104:107], a[100:101], v[84:85], v[104:107]// 000000004AA0: D3E10068 0DA2A964
	v_mfma_f32_16x16x16_bf16 v[104:107], a[102:103], v[86:87], v[104:107]// 000000004AA8: D3E10068 0DA2AD66
	v_mfma_f32_16x16x16_bf16 v[104:107], a[104:105], v[88:89], v[104:107]// 000000004AB0: D3E10068 0DA2B168
	v_mfma_f32_16x16x16_bf16 v[104:107], a[106:107], v[90:91], v[104:107]// 000000004AB8: D3E10068 0DA2B56A
	v_mfma_f32_16x16x16_bf16 v[104:107], a[108:109], v[92:93], v[104:107]// 000000004AC0: D3E10068 0DA2B96C
	v_mfma_f32_16x16x16_bf16 v[104:107], a[110:111], v[94:95], v[104:107]// 000000004AC8: D3E10068 0DA2BD6E
	v_mfma_f32_16x16x16_bf16 v[108:111], a[112:113], v[80:81], 0// 000000004AD0: D3E1006C 0A02A170
	v_mfma_f32_16x16x16_bf16 v[108:111], a[114:115], v[82:83], v[108:111]// 000000004AD8: D3E1006C 0DB2A572
	v_mfma_f32_16x16x16_bf16 v[108:111], a[116:117], v[84:85], v[108:111]// 000000004AE0: D3E1006C 0DB2A974
	v_mfma_f32_16x16x16_bf16 v[108:111], a[118:119], v[86:87], v[108:111]// 000000004AE8: D3E1006C 0DB2AD76
	v_mfma_f32_16x16x16_bf16 v[108:111], a[120:121], v[88:89], v[108:111]// 000000004AF0: D3E1006C 0DB2B178
	v_mfma_f32_16x16x16_bf16 v[108:111], a[122:123], v[90:91], v[108:111]// 000000004AF8: D3E1006C 0DB2B57A
	v_mfma_f32_16x16x16_bf16 v[108:111], a[124:125], v[92:93], v[108:111]// 000000004B00: D3E1006C 0DB2B97C
	v_mfma_f32_16x16x16_bf16 v[108:111], a[126:127], v[94:95], v[108:111]// 000000004B08: D3E1006C 0DB2BD7E
	s_nop 8                                                    // 000000004B10: BF800008
	s_and_b32 s60, s54, 0xff                                   // 000000004B14: 863CFF36 000000FF
	v_mov_b32_e32 v53, s60                                     // 000000004B1C: 7E6A023C
	v_lshrrev_b32_e32 v30, 4, v0                               // 000000004B20: 203C0084
	v_mul_i32_i24_e32 v30, 4, v30                              // 000000004B24: 0C3C3C84
	s_mul_i32 s60, s7, 16                                      // 000000004B28: 923C9007
	v_add_u32_e32 v30, s60, v30                                // 000000004B2C: 683C3C3C
	v_add_u32_e32 v31, 1, v30                                  // 000000004B30: 683E3C81
	v_add_u32_e32 v32, 2, v30                                  // 000000004B34: 68403C82
	v_add_u32_e32 v33, 3, v30                                  // 000000004B38: 68423C83
	v_and_b32_e32 v38, v52, v9                                 // 000000004B3C: 264C1334
	v_cmp_lt_u32_e64 s[40:41], v30, v53                        // 000000004B40: D0C90028 00026B1E
	v_add_u32_e32 v30, 64, v30                                 // 000000004B48: 683C3CC0
	s_nop 0                                                    // 000000004B4C: BF800000
	v_cndmask_b32_e64 v96, v38, v96, s[40:41]                  // 000000004B50: D1000060 00A2C126
	v_cmp_lt_u32_e64 s[40:41], v31, v53                        // 000000004B58: D0C90028 00026B1F
	v_add_u32_e32 v31, 64, v31                                 // 000000004B60: 683E3EC0
	s_nop 0                                                    // 000000004B64: BF800000
	v_cndmask_b32_e64 v97, v38, v97, s[40:41]                  // 000000004B68: D1000061 00A2C326
	v_cmp_lt_u32_e64 s[40:41], v32, v53                        // 000000004B70: D0C90028 00026B20
	v_add_u32_e32 v32, 64, v32                                 // 000000004B78: 684040C0
	s_nop 0                                                    // 000000004B7C: BF800000
	v_cndmask_b32_e64 v98, v38, v98, s[40:41]                  // 000000004B80: D1000062 00A2C526
	v_cmp_lt_u32_e64 s[40:41], v33, v53                        // 000000004B88: D0C90028 00026B21
	v_add_u32_e32 v33, 64, v33                                 // 000000004B90: 684242C0
	s_nop 0                                                    // 000000004B94: BF800000
	v_cndmask_b32_e64 v99, v38, v99, s[40:41]                  // 000000004B98: D1000063 00A2C726
	v_cmp_lt_u32_e64 s[40:41], v30, v53                        // 000000004BA0: D0C90028 00026B1E
	v_add_u32_e32 v30, 64, v30                                 // 000000004BA8: 683C3CC0
	s_nop 0                                                    // 000000004BAC: BF800000
	v_cndmask_b32_e64 v100, v38, v100, s[40:41]                // 000000004BB0: D1000064 00A2C926
	v_cmp_lt_u32_e64 s[40:41], v31, v53                        // 000000004BB8: D0C90028 00026B1F
	v_add_u32_e32 v31, 64, v31                                 // 000000004BC0: 683E3EC0
	s_nop 0                                                    // 000000004BC4: BF800000
	v_cndmask_b32_e64 v101, v38, v101, s[40:41]                // 000000004BC8: D1000065 00A2CB26
	v_cmp_lt_u32_e64 s[40:41], v32, v53                        // 000000004BD0: D0C90028 00026B20
	v_add_u32_e32 v32, 64, v32                                 // 000000004BD8: 684040C0
	s_nop 0                                                    // 000000004BDC: BF800000
	v_cndmask_b32_e64 v102, v38, v102, s[40:41]                // 000000004BE0: D1000066 00A2CD26
	v_cmp_lt_u32_e64 s[40:41], v33, v53                        // 000000004BE8: D0C90028 00026B21
	v_add_u32_e32 v33, 64, v33                                 // 000000004BF0: 684242C0
	s_nop 0                                                    // 000000004BF4: BF800000
	v_cndmask_b32_e64 v103, v38, v103, s[40:41]                // 000000004BF8: D1000067 00A2CF26
	v_cmp_lt_u32_e64 s[40:41], v30, v53                        // 000000004C00: D0C90028 00026B1E
	v_add_u32_e32 v30, 64, v30                                 // 000000004C08: 683C3CC0
	s_nop 0                                                    // 000000004C0C: BF800000
	v_cndmask_b32_e64 v104, v38, v104, s[40:41]                // 000000004C10: D1000068 00A2D126
	v_cmp_lt_u32_e64 s[40:41], v31, v53                        // 000000004C18: D0C90028 00026B1F
	v_add_u32_e32 v31, 64, v31                                 // 000000004C20: 683E3EC0
	s_nop 0                                                    // 000000004C24: BF800000
	v_cndmask_b32_e64 v105, v38, v105, s[40:41]                // 000000004C28: D1000069 00A2D326
	v_cmp_lt_u32_e64 s[40:41], v32, v53                        // 000000004C30: D0C90028 00026B20
	v_add_u32_e32 v32, 64, v32                                 // 000000004C38: 684040C0
	s_nop 0                                                    // 000000004C3C: BF800000
	v_cndmask_b32_e64 v106, v38, v106, s[40:41]                // 000000004C40: D100006A 00A2D526
	v_cmp_lt_u32_e64 s[40:41], v33, v53                        // 000000004C48: D0C90028 00026B21
	v_add_u32_e32 v33, 64, v33                                 // 000000004C50: 684242C0
	s_nop 0                                                    // 000000004C54: BF800000
	v_cndmask_b32_e64 v107, v38, v107, s[40:41]                // 000000004C58: D100006B 00A2D726
	v_cmp_lt_u32_e64 s[40:41], v30, v53                        // 000000004C60: D0C90028 00026B1E
	v_add_u32_e32 v30, 64, v30                                 // 000000004C68: 683C3CC0
	s_nop 0                                                    // 000000004C6C: BF800000
	v_cndmask_b32_e64 v108, v38, v108, s[40:41]                // 000000004C70: D100006C 00A2D926
	v_cmp_lt_u32_e64 s[40:41], v31, v53                        // 000000004C78: D0C90028 00026B1F
	v_add_u32_e32 v31, 64, v31                                 // 000000004C80: 683E3EC0
	s_nop 0                                                    // 000000004C84: BF800000
	v_cndmask_b32_e64 v109, v38, v109, s[40:41]                // 000000004C88: D100006D 00A2DB26
	v_cmp_lt_u32_e64 s[40:41], v32, v53                        // 000000004C90: D0C90028 00026B20
	v_add_u32_e32 v32, 64, v32                                 // 000000004C98: 684040C0
	s_nop 0                                                    // 000000004C9C: BF800000
	v_cndmask_b32_e64 v110, v38, v110, s[40:41]                // 000000004CA0: D100006E 00A2DD26
	v_cmp_lt_u32_e64 s[40:41], v33, v53                        // 000000004CA8: D0C90028 00026B21
	v_add_u32_e32 v33, 64, v33                                 // 000000004CB0: 684242C0
	s_nop 0                                                    // 000000004CB4: BF800000
	v_cndmask_b32_e64 v111, v38, v111, s[40:41]                // 000000004CB8: D100006F 00A2DF26
	s_nop 8                                                    // 000000004CC0: BF800008
	v_or_b32_dpp v96, v104, v96 row_shr:8 row_mask:0xf bank_mask:0xf bound_ctrl:1// 000000004CC4: 28C0C0FA FF091868
	v_or_b32_dpp v97, v105, v97 row_shr:8 row_mask:0xf bank_mask:0xf bound_ctrl:1// 000000004CCC: 28C2C2FA FF091869
	v_or_b32_dpp v98, v106, v98 row_shr:8 row_mask:0xf bank_mask:0xf bound_ctrl:1// 000000004CD4: 28C4C4FA FF09186A
	v_or_b32_dpp v99, v107, v99 row_shr:8 row_mask:0xf bank_mask:0xf bound_ctrl:1// 000000004CDC: 28C6C6FA FF09186B
	v_or_b32_dpp v100, v108, v100 row_shr:8 row_mask:0xf bank_mask:0xf bound_ctrl:1// 000000004CE4: 28C8C8FA FF09186C
	v_or_b32_dpp v101, v109, v101 row_shr:8 row_mask:0xf bank_mask:0xf bound_ctrl:1// 000000004CEC: 28CACAFA FF09186D
	v_or_b32_dpp v102, v110, v102 row_shr:8 row_mask:0xf bank_mask:0xf bound_ctrl:1// 000000004CF4: 28CCCCFA FF09186E
	v_or_b32_dpp v103, v111, v103 row_shr:8 row_mask:0xf bank_mask:0xf bound_ctrl:1// 000000004CFC: 28CECEFA FF09186F
	v_mov_b32_e32 v48, v96                                     // 000000004D04: 7E600360
	v_max3_f32 v48, v96, v97, v48                              // 000000004D08: D1D30030 04C2C360
	v_max3_f32 v48, v98, v99, v48                              // 000000004D10: D1D30030 04C2C762
	v_max3_f32 v48, v100, v101, v48                            // 000000004D18: D1D30030 04C2CB64
	v_max3_f32 v48, v102, v103, v48                            // 000000004D20: D1D30030 04C2CF66
	ds_write_b32 v11, v48 offset:4224                          // 000000004D28: D81A1080 0000300B
	s_waitcnt lgkmcnt(0)                                       // 000000004D30: BF8CC07F
	s_barrier                                                  // 000000004D34: BF8A0000
	ds_read_b32 v64, v10 offset:4224                           // 000000004D38: D86C1080 4000000A
	ds_read_b32 v65, v10 offset:4288                           // 000000004D40: D86C10C0 4100000A
	ds_read_b32 v66, v10 offset:4352                           // 000000004D48: D86C1100 4200000A
	ds_read_b32 v67, v10 offset:4416                           // 000000004D50: D86C1140 4300000A
	ds_read_b32 v68, v10 offset:4480                           // 000000004D58: D86C1180 4400000A
	ds_read_b32 v69, v10 offset:4544                           // 000000004D60: D86C11C0 4500000A
	ds_read_b32 v70, v10 offset:4608                           // 000000004D68: D86C1200 4600000A
	ds_read_b32 v71, v10 offset:4672                           // 000000004D70: D86C1240 4700000A
	ds_read_b32 v72, v10 offset:4736                           // 000000004D78: D86C1280 4800000A
	ds_read_b32 v73, v10 offset:4800                           // 000000004D80: D86C12C0 4900000A
	ds_read_b32 v74, v10 offset:4864                           // 000000004D88: D86C1300 4A00000A
	ds_read_b32 v75, v10 offset:4928                           // 000000004D90: D86C1340 4B00000A
	ds_read_b32 v76, v10 offset:4992                           // 000000004D98: D86C1380 4C00000A
	ds_read_b32 v77, v10 offset:5056                           // 000000004DA0: D86C13C0 4D00000A
	ds_read_b32 v78, v10 offset:5120                           // 000000004DA8: D86C1400 4E00000A
	ds_read_b32 v79, v10 offset:5184                           // 000000004DB0: D86C1440 4F00000A
	s_waitcnt lgkmcnt(0)                                       // 000000004DB8: BF8CC07F
	v_max3_f32 v48, v64, v65, v48                              // 000000004DBC: D1D30030 04C28340
	v_max3_f32 v48, v66, v67, v48                              // 000000004DC4: D1D30030 04C28742
	v_max3_f32 v48, v68, v69, v48                              // 000000004DCC: D1D30030 04C28B44
	v_max3_f32 v48, v70, v71, v48                              // 000000004DD4: D1D30030 04C28F46
	v_max3_f32 v48, v72, v73, v48                              // 000000004DDC: D1D30030 04C29348
	v_max3_f32 v48, v74, v75, v48                              // 000000004DE4: D1D30030 04C2974A
	v_max3_f32 v48, v76, v77, v48                              // 000000004DEC: D1D30030 04C29B4C
	v_max3_f32 v48, v78, v79, v48                              // 000000004DF4: D1D30030 04C29F4E
	v_cmp_eq_u32_e64 s[40:41], v52, v14                        // 000000004DFC: D0CA0028 00021D34
	s_nop 1                                                    // 000000004E04: BF800001
	v_mov_b32_dpp v38, v48 row_ror:8 row_mask:0xf bank_mask:0xf// 000000004E08: 7E4C02FA FF012830
	v_max_f32_e32 v48, v48, v38                                // 000000004E10: 16604D30
	v_max_f32_e32 v15, v48, v14                                // 000000004E14: 161E1D30
	v_sub_f32_e32 v49, v14, v15                                // 000000004E18: 04621F0E
	v_cndmask_b32_e64 v49, v49, 0, s[40:41]                    // 000000004E1C: D1000031 00A10131
	v_mov_b32_e32 v14, v15                                     // 000000004E24: 7E1C030F
	v_mul_f32_e32 v50, s64, v15                                // 000000004E28: 0A641E40
	v_mul_f32_e32 v49, s64, v49                                // 000000004E2C: 0A626240
	v_exp_f32_e32 v49, v49                                     // 000000004E30: 7E624131
	v_fma_f32 v96, v96, s64, -v50                              // 000000004E34: D1CB0060 84C88160
	v_fma_f32 v97, v97, s64, -v50                              // 000000004E3C: D1CB0061 84C88161
	v_fma_f32 v98, v98, s64, -v50                              // 000000004E44: D1CB0062 84C88162
	v_fma_f32 v99, v99, s64, -v50                              // 000000004E4C: D1CB0063 84C88163
	v_fma_f32 v100, v100, s64, -v50                            // 000000004E54: D1CB0064 84C88164
	v_fma_f32 v101, v101, s64, -v50                            // 000000004E5C: D1CB0065 84C88165
	v_fma_f32 v102, v102, s64, -v50                            // 000000004E64: D1CB0066 84C88166
	v_fma_f32 v103, v103, s64, -v50                            // 000000004E6C: D1CB0067 84C88167
	v_exp_f32_e32 v96, v96                                     // 000000004E74: 7EC04160
	v_exp_f32_e32 v97, v97                                     // 000000004E78: 7EC24161
	v_exp_f32_e32 v98, v98                                     // 000000004E7C: 7EC44162
	v_exp_f32_e32 v99, v99                                     // 000000004E80: 7EC64163
	v_exp_f32_e32 v100, v100                                   // 000000004E84: 7EC84164
	v_exp_f32_e32 v101, v101                                   // 000000004E88: 7ECA4165
	v_exp_f32_e32 v102, v102                                   // 000000004E8C: 7ECC4166
	v_exp_f32_e32 v103, v103                                   // 000000004E90: 7ECE4167
	v_mul_f32_e32 v42, v49, v42                                // 000000004E94: 0A545531
	v_mov_b32_e32 v43, v96                                     // 000000004E98: 7E560360
	v_add_f32_e32 v43, v97, v43                                // 000000004E9C: 02565761
	v_add_f32_e32 v43, v98, v43                                // 000000004EA0: 02565762
	v_add_f32_e32 v43, v99, v43                                // 000000004EA4: 02565763
	v_add_f32_e32 v43, v100, v43                               // 000000004EA8: 02565764
	v_add_f32_e32 v43, v101, v43                               // 000000004EAC: 02565765
	v_add_f32_e32 v43, v102, v43                               // 000000004EB0: 02565766
	v_add_f32_e32 v43, v103, v43                               // 000000004EB4: 02565767
	v_add_f32_e32 v42, v43, v42                                // 000000004EB8: 0254552B
	v_add_u32_e32 v96, 0x8000, v96                             // 000000004EBC: 68C0C0FF 00008000
	v_add_u32_e32 v97, 0x8000, v97                             // 000000004EC4: 68C2C2FF 00008000
	v_perm_b32 v96, v97, v96, s70                              // 000000004ECC: D1ED0060 011AC161
	v_add_u32_e32 v98, 0x8000, v98                             // 000000004ED4: 68C4C4FF 00008000
	v_add_u32_e32 v99, 0x8000, v99                             // 000000004EDC: 68C6C6FF 00008000
	v_perm_b32 v97, v99, v98, s70                              // 000000004EE4: D1ED0061 011AC563
	v_add_u32_e32 v100, 0x8000, v100                           // 000000004EEC: 68C8C8FF 00008000
	v_add_u32_e32 v101, 0x8000, v101                           // 000000004EF4: 68CACAFF 00008000
	v_perm_b32 v98, v101, v100, s70                            // 000000004EFC: D1ED0062 011AC965
	v_add_u32_e32 v102, 0x8000, v102                           // 000000004F04: 68CCCCFF 00008000
	v_add_u32_e32 v103, 0x8000, v103                           // 000000004F0C: 68CECEFF 00008000
	v_perm_b32 v99, v103, v102, s70                            // 000000004F14: D1ED0063 011ACD67
	ds_write_b64 v13, v[96:97] offset:5248                     // 000000004F1C: D89A1480 0000600D
	ds_write_b64 v13, v[98:99] offset:7296                     // 000000004F24: D89A1C80 0000620D
	s_waitcnt lgkmcnt(0)                                       // 000000004F2C: BF8CC07F
	s_barrier                                                  // 000000004F30: BF8A0000
	ds_read_b64 v[96:97], v12 offset:5248                      // 000000004F34: D8EC1480 6000000C
	ds_read_b64 v[98:99], v12 offset:5376                      // 000000004F3C: D8EC1500 6200000C
	ds_read_b64 v[100:101], v12 offset:6272                    // 000000004F44: D8EC1880 6400000C
	ds_read_b64 v[102:103], v12 offset:6400                    // 000000004F4C: D8EC1900 6600000C
	ds_read_b64 v[104:105], v12 offset:7296                    // 000000004F54: D8EC1C80 6800000C
	ds_read_b64 v[106:107], v12 offset:7424                    // 000000004F5C: D8EC1D00 6A00000C
	ds_read_b64 v[108:109], v12 offset:8320                    // 000000004F64: D8EC2080 6C00000C
	ds_read_b64 v[110:111], v12 offset:8448                    // 000000004F6C: D8EC2100 6E00000C
	s_waitcnt lgkmcnt(0)                                       // 000000004F74: BF8CC07F
	v_mov_b32_dpp v112, v96 row_shl:8 row_mask:0xf bank_mask:0xf bound_ctrl:1// 000000004F78: 7EE002FA FF090860
	v_and_b32_e32 v96, v96, v9                                 // 000000004F80: 26C01360
	v_mov_b32_dpp v113, v97 row_shl:8 row_mask:0xf bank_mask:0xf bound_ctrl:1// 000000004F84: 7EE202FA FF090861
	v_and_b32_e32 v97, v97, v9                                 // 000000004F8C: 26C21361
	v_mov_b32_dpp v114, v98 row_shl:8 row_mask:0xf bank_mask:0xf bound_ctrl:1// 000000004F90: 7EE402FA FF090862
	v_and_b32_e32 v98, v98, v9                                 // 000000004F98: 26C41362
	v_mov_b32_dpp v115, v99 row_shl:8 row_mask:0xf bank_mask:0xf bound_ctrl:1// 000000004F9C: 7EE602FA FF090863
	v_and_b32_e32 v99, v99, v9                                 // 000000004FA4: 26C61363
	v_mov_b32_dpp v116, v100 row_shl:8 row_mask:0xf bank_mask:0xf bound_ctrl:1// 000000004FA8: 7EE802FA FF090864
	v_and_b32_e32 v100, v100, v9                               // 000000004FB0: 26C81364
	v_mov_b32_dpp v117, v101 row_shl:8 row_mask:0xf bank_mask:0xf bound_ctrl:1// 000000004FB4: 7EEA02FA FF090865
	v_and_b32_e32 v101, v101, v9                               // 000000004FBC: 26CA1365
	v_mov_b32_dpp v118, v102 row_shl:8 row_mask:0xf bank_mask:0xf bound_ctrl:1// 000000004FC0: 7EEC02FA FF090866
	v_and_b32_e32 v102, v102, v9                               // 000000004FC8: 26CC1366
	v_mov_b32_dpp v119, v103 row_shl:8 row_mask:0xf bank_mask:0xf bound_ctrl:1// 000000004FCC: 7EEE02FA FF090867
	v_and_b32_e32 v103, v103, v9                               // 000000004FD4: 26CE1367
	v_mov_b32_dpp v120, v104 row_shl:8 row_mask:0xf bank_mask:0xf bound_ctrl:1// 000000004FD8: 7EF002FA FF090868
	v_and_b32_e32 v104, v104, v9                               // 000000004FE0: 26D01368
	v_mov_b32_dpp v121, v105 row_shl:8 row_mask:0xf bank_mask:0xf bound_ctrl:1// 000000004FE4: 7EF202FA FF090869
	v_and_b32_e32 v105, v105, v9                               // 000000004FEC: 26D21369
	v_mov_b32_dpp v122, v106 row_shl:8 row_mask:0xf bank_mask:0xf bound_ctrl:1// 000000004FF0: 7EF402FA FF09086A
	v_and_b32_e32 v106, v106, v9                               // 000000004FF8: 26D4136A
	v_mov_b32_dpp v123, v107 row_shl:8 row_mask:0xf bank_mask:0xf bound_ctrl:1// 000000004FFC: 7EF602FA FF09086B
	v_and_b32_e32 v107, v107, v9                               // 000000005004: 26D6136B
	v_mov_b32_dpp v124, v108 row_shl:8 row_mask:0xf bank_mask:0xf bound_ctrl:1// 000000005008: 7EF802FA FF09086C
	v_and_b32_e32 v108, v108, v9                               // 000000005010: 26D8136C
	v_mov_b32_dpp v125, v109 row_shl:8 row_mask:0xf bank_mask:0xf bound_ctrl:1// 000000005014: 7EFA02FA FF09086D
	v_and_b32_e32 v109, v109, v9                               // 00000000501C: 26DA136D
	v_mov_b32_dpp v126, v110 row_shl:8 row_mask:0xf bank_mask:0xf bound_ctrl:1// 000000005020: 7EFC02FA FF09086E
	v_and_b32_e32 v110, v110, v9                               // 000000005028: 26DC136E
	v_mov_b32_dpp v127, v111 row_shl:8 row_mask:0xf bank_mask:0xf bound_ctrl:1// 00000000502C: 7EFE02FA FF09086F
	v_and_b32_e32 v111, v111, v9                               // 000000005034: 26DE136F
	v_mul_f32_e32 v128, v49, v128                              // 000000005038: 0B010131
	v_mul_f32_e32 v129, v49, v129                              // 00000000503C: 0B030331
	v_mul_f32_e32 v130, v49, v130                              // 000000005040: 0B050531
	v_mul_f32_e32 v131, v49, v131                              // 000000005044: 0B070731
	v_mul_f32_e32 v132, v49, v132                              // 000000005048: 0B090931
	v_mul_f32_e32 v133, v49, v133                              // 00000000504C: 0B0B0B31
	v_mul_f32_e32 v134, v49, v134                              // 000000005050: 0B0D0D31
	v_mul_f32_e32 v135, v49, v135                              // 000000005054: 0B0F0F31
	s_waitcnt vmcnt(0)                                         // 000000005058: BF8C0F70
	s_barrier                                                  // 00000000505C: BF8A0000
	v_mfma_f32_16x16x16_bf16 v[128:131], a[192:193], v[96:97], v[128:131]// 000000005060: D3E10080 0E02C1C0
	v_mfma_f32_16x16x16_bf16 v[128:131], a[194:195], v[98:99], v[128:131]// 000000005068: D3E10080 0E02C5C2
	v_mfma_f32_16x16x16_bf16 v[128:131], a[196:197], v[100:101], v[128:131]// 000000005070: D3E10080 0E02C9C4
	v_mfma_f32_16x16x16_bf16 v[128:131], a[198:199], v[102:103], v[128:131]// 000000005078: D3E10080 0E02CDC6
	v_mfma_f32_16x16x16_bf16 v[128:131], a[200:201], v[104:105], v[128:131]// 000000005080: D3E10080 0E02D1C8
	v_mfma_f32_16x16x16_bf16 v[128:131], a[202:203], v[106:107], v[128:131]// 000000005088: D3E10080 0E02D5CA
	v_mfma_f32_16x16x16_bf16 v[128:131], a[204:205], v[108:109], v[128:131]// 000000005090: D3E10080 0E02D9CC
	v_mfma_f32_16x16x16_bf16 v[128:131], a[206:207], v[110:111], v[128:131]// 000000005098: D3E10080 0E02DDCE
	v_mfma_f32_16x16x16_bf16 v[128:131], a[208:209], v[112:113], v[128:131]// 0000000050A0: D3E10080 0E02E1D0
	v_mfma_f32_16x16x16_bf16 v[128:131], a[210:211], v[114:115], v[128:131]// 0000000050A8: D3E10080 0E02E5D2
	v_mfma_f32_16x16x16_bf16 v[128:131], a[212:213], v[116:117], v[128:131]// 0000000050B0: D3E10080 0E02E9D4
	v_mfma_f32_16x16x16_bf16 v[128:131], a[214:215], v[118:119], v[128:131]// 0000000050B8: D3E10080 0E02EDD6
	v_mfma_f32_16x16x16_bf16 v[128:131], a[216:217], v[120:121], v[128:131]// 0000000050C0: D3E10080 0E02F1D8
	v_mfma_f32_16x16x16_bf16 v[128:131], a[218:219], v[122:123], v[128:131]// 0000000050C8: D3E10080 0E02F5DA
	v_mfma_f32_16x16x16_bf16 v[128:131], a[220:221], v[124:125], v[128:131]// 0000000050D0: D3E10080 0E02F9DC
	v_mfma_f32_16x16x16_bf16 v[128:131], a[222:223], v[126:127], v[128:131]// 0000000050D8: D3E10080 0E02FDDE
	v_mfma_f32_16x16x16_bf16 v[132:135], a[224:225], v[96:97], v[132:135]// 0000000050E0: D3E10084 0E12C1E0
	v_mfma_f32_16x16x16_bf16 v[132:135], a[226:227], v[98:99], v[132:135]// 0000000050E8: D3E10084 0E12C5E2
	v_mfma_f32_16x16x16_bf16 v[132:135], a[228:229], v[100:101], v[132:135]// 0000000050F0: D3E10084 0E12C9E4
	v_mfma_f32_16x16x16_bf16 v[132:135], a[230:231], v[102:103], v[132:135]// 0000000050F8: D3E10084 0E12CDE6
	v_mfma_f32_16x16x16_bf16 v[132:135], a[232:233], v[104:105], v[132:135]// 000000005100: D3E10084 0E12D1E8
	v_mfma_f32_16x16x16_bf16 v[132:135], a[234:235], v[106:107], v[132:135]// 000000005108: D3E10084 0E12D5EA
	v_mfma_f32_16x16x16_bf16 v[132:135], a[236:237], v[108:109], v[132:135]// 000000005110: D3E10084 0E12D9EC
	v_mfma_f32_16x16x16_bf16 v[132:135], a[238:239], v[110:111], v[132:135]// 000000005118: D3E10084 0E12DDEE
	v_mfma_f32_16x16x16_bf16 v[132:135], a[240:241], v[112:113], v[132:135]// 000000005120: D3E10084 0E12E1F0
	v_mfma_f32_16x16x16_bf16 v[132:135], a[242:243], v[114:115], v[132:135]// 000000005128: D3E10084 0E12E5F2
	v_mfma_f32_16x16x16_bf16 v[132:135], a[244:245], v[116:117], v[132:135]// 000000005130: D3E10084 0E12E9F4
	v_mfma_f32_16x16x16_bf16 v[132:135], a[246:247], v[118:119], v[132:135]// 000000005138: D3E10084 0E12EDF6
	v_mfma_f32_16x16x16_bf16 v[132:135], a[248:249], v[120:121], v[132:135]// 000000005140: D3E10084 0E12F1F8
	v_mfma_f32_16x16x16_bf16 v[132:135], a[250:251], v[122:123], v[132:135]// 000000005148: D3E10084 0E12F5FA
	v_mfma_f32_16x16x16_bf16 v[132:135], a[252:253], v[124:125], v[132:135]// 000000005150: D3E10084 0E12F9FC
	v_mfma_f32_16x16x16_bf16 v[132:135], a[254:255], v[126:127], v[132:135]// 000000005158: D3E10084 0E12FDFE
	s_nop 8                                                    // 000000005160: BF800008
	s_branch label_0EF2                                        // 000000005164: BF820000

0000000000005168 <label_0EF2>:
	ds_write_b32 v11, v42 offset:4224                          // 000000005168: D81A1080 00002A0B
	s_waitcnt lgkmcnt(0)                                       // 000000005170: BF8CC07F
	s_barrier                                                  // 000000005174: BF8A0000
	ds_read_b32 v64, v10 offset:4224                           // 000000005178: D86C1080 4000000A
	ds_read_b32 v65, v10 offset:4288                           // 000000005180: D86C10C0 4100000A
	ds_read_b32 v66, v10 offset:4352                           // 000000005188: D86C1100 4200000A
	ds_read_b32 v67, v10 offset:4416                           // 000000005190: D86C1140 4300000A
	ds_read_b32 v68, v10 offset:4480                           // 000000005198: D86C1180 4400000A
	ds_read_b32 v69, v10 offset:4544                           // 0000000051A0: D86C11C0 4500000A
	ds_read_b32 v70, v10 offset:4608                           // 0000000051A8: D86C1200 4600000A
	ds_read_b32 v71, v10 offset:4672                           // 0000000051B0: D86C1240 4700000A
	ds_read_b32 v72, v10 offset:4736                           // 0000000051B8: D86C1280 4800000A
	ds_read_b32 v73, v10 offset:4800                           // 0000000051C0: D86C12C0 4900000A
	ds_read_b32 v74, v10 offset:4864                           // 0000000051C8: D86C1300 4A00000A
	ds_read_b32 v75, v10 offset:4928                           // 0000000051D0: D86C1340 4B00000A
	ds_read_b32 v76, v10 offset:4992                           // 0000000051D8: D86C1380 4C00000A
	ds_read_b32 v77, v10 offset:5056                           // 0000000051E0: D86C13C0 4D00000A
	ds_read_b32 v78, v10 offset:5120                           // 0000000051E8: D86C1400 4E00000A
	ds_read_b32 v79, v10 offset:5184                           // 0000000051F0: D86C1440 4F00000A
	s_waitcnt lgkmcnt(0)                                       // 0000000051F8: BF8CC07F
	v_mov_b32_e32 v42, 0                                       // 0000000051FC: 7E540280
	v_add_f32_e32 v42, v64, v42                                // 000000005200: 02545540
	v_add_f32_e32 v42, v65, v42                                // 000000005204: 02545541
	;; [unrolled: 1-line block ×3, first 2 shown]
	v_add_f32_e32 v42, v67, v42                                // 00000000520C: 02545543
	v_add_f32_e32 v42, v68, v42                                // 000000005210: 02545544
	v_add_f32_e32 v42, v69, v42                                // 000000005214: 02545545
	v_add_f32_e32 v42, v70, v42                                // 000000005218: 02545546
	v_add_f32_e32 v42, v71, v42                                // 00000000521C: 02545547
	v_add_f32_e32 v42, v72, v42                                // 000000005220: 02545548
	v_add_f32_e32 v42, v73, v42                                // 000000005224: 02545549
	v_add_f32_e32 v42, v74, v42                                // 000000005228: 0254554A
	v_add_f32_e32 v42, v75, v42                                // 00000000522C: 0254554B
	v_add_f32_e32 v42, v76, v42                                // 000000005230: 0254554C
	v_add_f32_e32 v42, v77, v42                                // 000000005234: 0254554D
	v_add_f32_e32 v42, v78, v42                                // 000000005238: 0254554E
	v_add_f32_e32 v42, v79, v42                                // 00000000523C: 0254554F
	s_nop 1                                                    // 000000005240: BF800001
	v_mov_b32_dpp v38, v42 row_ror:8 row_mask:0xf bank_mask:0xf// 000000005244: 7E4C02FA FF01282A
	v_add_f32_e32 v42, v42, v38                                // 00000000524C: 02544D2A
	v_rcp_f32_e32 v42, v42                                     // 000000005250: 7E54452A
	s_nop 1                                                    // 000000005254: BF800001
	v_mul_f32_e32 v128, v42, v128                              // 000000005258: 0B01012A
	v_mul_f32_e32 v129, v42, v129                              // 00000000525C: 0B03032A
	v_mul_f32_e32 v130, v42, v130                              // 000000005260: 0B05052A
	v_mul_f32_e32 v131, v42, v131                              // 000000005264: 0B07072A
	v_mul_f32_e32 v132, v42, v132                              // 000000005268: 0B09092A
	v_mul_f32_e32 v133, v42, v133                              // 00000000526C: 0B0B0B2A
	v_mul_f32_e32 v134, v42, v134                              // 000000005270: 0B0D0D2A
	v_mul_f32_e32 v135, v42, v135                              // 000000005274: 0B0F0F2A
	v_add_u32_e32 v128, 0x8000, v128                           // 000000005278: 690100FF 00008000
	v_add_u32_e32 v129, 0x8000, v129                           // 000000005280: 690302FF 00008000
	v_perm_b32 v128, v129, v128, s70                           // 000000005288: D1ED0080 011B0181
	v_add_u32_e32 v130, 0x8000, v130                           // 000000005290: 690504FF 00008000
	v_add_u32_e32 v131, 0x8000, v131                           // 000000005298: 690706FF 00008000
	v_perm_b32 v129, v131, v130, s70                           // 0000000052A0: D1ED0081 011B0583
	v_add_u32_e32 v132, 0x8000, v132                           // 0000000052A8: 690908FF 00008000
	v_add_u32_e32 v133, 0x8000, v133                           // 0000000052B0: 690B0AFF 00008000
	v_perm_b32 v130, v133, v132, s70                           // 0000000052B8: D1ED0082 011B0985
	v_add_u32_e32 v134, 0x8000, v134                           // 0000000052C0: 690D0CFF 00008000
	v_add_u32_e32 v135, 0x8000, v135                           // 0000000052C8: 690F0EFF 00008000
	v_perm_b32 v131, v135, v134, s70                           // 0000000052D0: D1ED0083 011B0D87
	v_lshrrev_b32_e32 v38, 4, v0                               // 0000000052D8: 204C0084
	v_mul_i32_i24_e32 v5, 34, v38                              // 0000000052DC: 0C0A4CA2
	v_and_b32_e32 v38, 15, v0                                  // 0000000052E0: 264C008F
	v_mul_i32_i24_e32 v39, 2, v38                              // 0000000052E4: 0C4E4C82
	v_add_u32_e32 v5, v39, v5                                  // 0000000052E8: 680A0B27
	s_mul_i32 s60, s7, 0x88                                    // 0000000052EC: 923CFF07 00000088
	v_add_u32_e32 v5, s60, v5                                  // 0000000052F4: 680A0A3C
	v_lshlrev_b32_e32 v5, 2, v5                                // 0000000052F8: 240A0A82
	ds_write_b64 v5, v[128:129] offset:13440                   // 0000000052FC: D89A3480 00008005
	ds_write_b64 v5, v[130:131] offset:15616                   // 000000005304: D89A3D00 00008205
	v_lshrrev_b32_e32 v38, 1, v0                               // 00000000530C: 204C0081
	v_mul_i32_i24_e32 v5, 34, v38                              // 000000005310: 0C0A4CA2
	v_and_b32_e32 v39, 1, v0                                   // 000000005314: 264E0081
	v_add_u32_e32 v5, v39, v5                                  // 000000005318: 680A0B27
	s_mul_i32 s60, s7, 2                                       // 00000000531C: 923C8207
	v_add_u32_e32 v5, s60, v5                                  // 000000005320: 680A0A3C
	v_lshlrev_b32_e32 v5, 2, v5                                // 000000005324: 240A0A82
	s_waitcnt lgkmcnt(0)                                       // 000000005328: BF8CC07F
	s_barrier                                                  // 00000000532C: BF8A0000
	ds_read_b32 v128, v5 offset:13440                          // 000000005330: D86C3480 80000005
	ds_read_b32 v129, v5 offset:13472                          // 000000005338: D86C34A0 81000005
	s_waitcnt lgkmcnt(0)                                       // 000000005340: BF8CC07F
	buffer_store_dword v128, v8, s[8:11], 0 offen              // 000000005344: E0701000 80028008
	buffer_store_dword v129, v8, s[8:11], 0 offen offset:1024  // 00000000534C: E0701400 80028108
	s_waitcnt vmcnt(0) expcnt(0) lgkmcnt(0)                    // 000000005354: BF8C0000
	s_endpgm                                                   // 000000005358: BF810000
